;; amdgpu-corpus repo=ROCm/rocFFT kind=compiled arch=gfx1030 opt=O3
	.text
	.amdgcn_target "amdgcn-amd-amdhsa--gfx1030"
	.amdhsa_code_object_version 6
	.protected	bluestein_single_fwd_len1680_dim1_sp_op_CI_CI ; -- Begin function bluestein_single_fwd_len1680_dim1_sp_op_CI_CI
	.globl	bluestein_single_fwd_len1680_dim1_sp_op_CI_CI
	.p2align	8
	.type	bluestein_single_fwd_len1680_dim1_sp_op_CI_CI,@function
bluestein_single_fwd_len1680_dim1_sp_op_CI_CI: ; @bluestein_single_fwd_len1680_dim1_sp_op_CI_CI
; %bb.0:
	s_load_dwordx4 s[8:11], s[4:5], 0x28
	v_mul_u32_u24_e32 v1, 0x24a, v0
	v_mov_b32_e32 v113, 0
	s_mov_b32 s0, exec_lo
	v_lshrrev_b32_e32 v1, 16, v1
	v_add_nc_u32_e32 v112, s6, v1
	s_waitcnt lgkmcnt(0)
	v_cmpx_gt_u64_e64 s[8:9], v[112:113]
	s_cbranch_execz .LBB0_47
; %bb.1:
	s_clause 0x1
	s_load_dwordx4 s[0:3], s[4:5], 0x18
	s_load_dwordx2 s[6:7], s[4:5], 0x0
	v_mul_lo_u16 v1, 0x70, v1
	v_sub_nc_u16 v38, v0, v1
	v_and_b32_e32 v146, 0xffff, v38
	v_lshlrev_b32_e32 v145, 3, v146
	s_waitcnt lgkmcnt(0)
	s_load_dwordx4 s[12:15], s[0:1], 0x0
	s_clause 0x2
	global_load_dwordx2 v[127:128], v145, s[6:7]
	global_load_dwordx2 v[123:124], v145, s[6:7] offset:896
	global_load_dwordx2 v[119:120], v145, s[6:7] offset:1792
	v_add_co_u32 v82, s0, s6, v145
	v_add_co_ci_u32_e64 v83, null, s7, 0, s0
	v_add_co_u32 v104, vcc_lo, 0x1800, v82
	v_add_co_ci_u32_e32 v105, vcc_lo, 0, v83, vcc_lo
	v_add_co_u32 v0, vcc_lo, 0x2000, v82
	v_add_co_ci_u32_e32 v1, vcc_lo, 0, v83, vcc_lo
	s_clause 0x3
	global_load_dwordx2 v[133:134], v[104:105], off offset:576
	global_load_dwordx2 v[131:132], v[104:105], off offset:1472
	global_load_dwordx2 v[129:130], v[0:1], off offset:320
	global_load_dwordx2 v[121:122], v[0:1], off offset:1216
	v_add_co_u32 v2, vcc_lo, 0x800, v82
	s_waitcnt lgkmcnt(0)
	v_mad_u64_u32 v[6:7], null, s14, v112, 0
	v_mad_u64_u32 v[8:9], null, s12, v146, 0
	v_add_co_ci_u32_e32 v3, vcc_lo, 0, v83, vcc_lo
	v_add_co_u32 v4, vcc_lo, 0x2800, v82
	v_add_co_ci_u32_e32 v5, vcc_lo, 0, v83, vcc_lo
	v_mov_b32_e32 v0, v9
	v_mad_u64_u32 v[12:13], null, s15, v112, v[7:8]
	v_add_co_u32 v10, vcc_lo, 0x1000, v82
	v_mad_u64_u32 v[0:1], null, s13, v146, v[0:1]
	v_add_co_ci_u32_e32 v11, vcc_lo, 0, v83, vcc_lo
	v_mov_b32_e32 v7, v12
	s_clause 0x1
	global_load_dwordx2 v[125:126], v[2:3], off offset:640
	global_load_dwordx2 v[110:111], v[2:3], off offset:1536
	s_mul_i32 s1, s13, 0x348
	s_mul_hi_u32 s7, s12, 0x348
	v_mov_b32_e32 v9, v0
	v_lshlrev_b64 v[0:1], 3, v[6:7]
	s_mul_i32 s0, s12, 0x348
	s_mul_hi_u32 s9, s12, 0xfffffd28
	s_add_i32 s1, s7, s1
	v_lshlrev_b64 v[2:3], 3, v[8:9]
	s_mul_i32 s8, s13, 0xfffffd28
	v_add_co_u32 v0, vcc_lo, s10, v0
	v_add_co_ci_u32_e32 v1, vcc_lo, s11, v1, vcc_lo
	s_mul_i32 s6, s12, 0xfffffd28
	v_add_co_u32 v0, vcc_lo, v0, v2
	v_add_co_ci_u32_e32 v1, vcc_lo, v1, v3, vcc_lo
	s_sub_i32 s7, s9, s12
	s_lshl_b64 s[12:13], s[0:1], 3
	s_add_i32 s7, s7, s8
	v_add_co_u32 v2, vcc_lo, v0, s12
	v_add_co_ci_u32_e32 v3, vcc_lo, s13, v1, vcc_lo
	s_lshl_b64 s[0:1], s[6:7], 3
	global_load_dwordx2 v[8:9], v[0:1], off
	v_add_co_u32 v6, vcc_lo, v2, s0
	v_add_co_ci_u32_e32 v7, vcc_lo, s1, v3, vcc_lo
	global_load_dwordx2 v[108:109], v[10:11], off offset:384
	v_add_co_u32 v0, vcc_lo, v6, s12
	v_add_co_ci_u32_e32 v1, vcc_lo, s13, v7, vcc_lo
	s_clause 0x1
	global_load_dwordx2 v[113:114], v[4:5], off offset:64
	global_load_dwordx2 v[106:107], v[4:5], off offset:960
	v_add_co_u32 v12, vcc_lo, v0, s0
	v_add_co_ci_u32_e32 v13, vcc_lo, s1, v1, vcc_lo
	s_clause 0x2
	global_load_dwordx2 v[2:3], v[2:3], off
	global_load_dwordx2 v[14:15], v[6:7], off
	global_load_dwordx2 v[16:17], v[0:1], off
	v_add_co_u32 v0, vcc_lo, v12, s12
	v_add_co_ci_u32_e32 v1, vcc_lo, s13, v13, vcc_lo
	global_load_dwordx2 v[12:13], v[12:13], off
	v_add_co_u32 v6, vcc_lo, v0, s0
	v_add_co_ci_u32_e32 v7, vcc_lo, s1, v1, vcc_lo
	global_load_dwordx2 v[18:19], v[0:1], off
	;; [unrolled: 3-line block ×8, first 2 shown]
	v_add_co_u32 v0, vcc_lo, v6, s12
	v_add_co_ci_u32_e32 v1, vcc_lo, s13, v7, vcc_lo
	global_load_dwordx2 v[115:116], v[10:11], off offset:1280
	global_load_dwordx2 v[10:11], v[6:7], off
	global_load_dwordx2 v[117:118], v[4:5], off offset:1856
	global_load_dwordx2 v[32:33], v[0:1], off
	s_load_dwordx2 s[6:7], s[4:5], 0x38
	s_load_dwordx4 s[8:11], s[2:3], 0x0
	v_add_nc_u32_e32 v6, 0x1c00, v145
	v_add_nc_u32_e32 v5, 0x400, v145
	;; [unrolled: 1-line block ×3, first 2 shown]
	v_cmp_gt_u16_e32 vcc_lo, 56, v38
	s_waitcnt vmcnt(18)
	v_mul_f32_e32 v34, v9, v128
	v_mul_f32_e32 v7, v8, v128
	v_fmac_f32_e32 v34, v8, v127
	v_fma_f32 v35, v9, v127, -v7
	v_add_nc_u32_e32 v7, 0xc00, v145
	s_waitcnt vmcnt(14)
	v_mul_f32_e32 v8, v3, v134
	v_mul_f32_e32 v37, v2, v134
	s_waitcnt vmcnt(13)
	v_mul_f32_e32 v36, v15, v124
	v_mul_f32_e32 v39, v14, v124
	v_fmac_f32_e32 v8, v2, v133
	v_fma_f32 v9, v3, v133, -v37
	v_fmac_f32_e32 v36, v14, v123
	v_fma_f32 v37, v15, v123, -v39
	s_waitcnt vmcnt(12)
	v_mul_f32_e32 v2, v17, v132
	v_mul_f32_e32 v3, v16, v132
	ds_write_b64 v145, v[8:9] offset:6720
	ds_write2_b64 v145, v[34:35], v[36:37] offset1:112
	s_waitcnt vmcnt(10)
	v_mul_f32_e32 v8, v19, v130
	v_mul_f32_e32 v9, v18, v130
	v_fmac_f32_e32 v2, v16, v131
	v_fma_f32 v3, v17, v131, -v3
	v_mul_f32_e32 v14, v13, v120
	v_mul_f32_e32 v15, v12, v120
	s_waitcnt vmcnt(9)
	v_mul_f32_e32 v16, v21, v126
	v_mul_f32_e32 v17, v20, v126
	v_fmac_f32_e32 v8, v18, v129
	v_fma_f32 v9, v19, v129, -v9
	v_fmac_f32_e32 v14, v12, v119
	v_fma_f32 v15, v13, v119, -v15
	;; [unrolled: 2-line block ×3, first 2 shown]
	ds_write2_b64 v6, v[2:3], v[8:9] offset0:56 offset1:168
	s_waitcnt vmcnt(8)
	v_mul_f32_e32 v2, v23, v122
	v_mul_f32_e32 v3, v22, v122
	s_waitcnt vmcnt(7)
	v_mul_f32_e32 v8, v25, v111
	ds_write2_b64 v5, v[14:15], v[16:17] offset0:96 offset1:208
	s_waitcnt vmcnt(6)
	v_mul_f32_e32 v12, v26, v114
	v_mul_f32_e32 v13, v27, v114
	;; [unrolled: 1-line block ×3, first 2 shown]
	v_fmac_f32_e32 v2, v22, v121
	v_fma_f32 v3, v23, v121, -v3
	v_fma_f32 v14, v27, v113, -v12
	s_waitcnt vmcnt(5)
	v_mul_f32_e32 v15, v29, v109
	v_mul_f32_e32 v16, v28, v109
	v_fmac_f32_e32 v13, v26, v113
	v_fmac_f32_e32 v8, v24, v110
	s_waitcnt vmcnt(4)
	v_mul_f32_e32 v12, v30, v107
	v_mul_f32_e32 v17, v31, v107
	v_fma_f32 v9, v25, v110, -v9
	s_waitcnt vmcnt(2)
	v_mul_f32_e32 v19, v11, v116
	v_mul_f32_e32 v20, v10, v116
	s_waitcnt vmcnt(0)
	v_mul_f32_e32 v21, v33, v118
	v_mul_f32_e32 v22, v32, v118
	v_fma_f32 v18, v31, v106, -v12
	v_add_nc_u32_e32 v12, 0x2800, v145
	v_fmac_f32_e32 v15, v28, v108
	v_fma_f32 v16, v29, v108, -v16
	v_fmac_f32_e32 v19, v10, v115
	v_fma_f32 v20, v11, v115, -v20
	v_fmac_f32_e32 v17, v30, v106
	v_fmac_f32_e32 v21, v32, v117
	v_fma_f32 v22, v33, v117, -v22
	ds_write2_b64 v4, v[2:3], v[13:14] offset0:24 offset1:136
	ds_write2_b64 v7, v[8:9], v[15:16] offset0:64 offset1:176
	ds_write_b64 v145, v[19:20] offset:5376
	ds_write2_b64 v12, v[17:18], v[21:22] offset0:120 offset1:232
	s_and_saveexec_b32 s2, vcc_lo
	s_cbranch_execz .LBB0_3
; %bb.2:
	v_add_co_u32 v0, s0, v0, s0
	v_add_co_ci_u32_e64 v1, s0, s1, v1, s0
	v_add_co_u32 v2, s0, 0x3000, v82
	v_add_co_ci_u32_e64 v3, s0, 0, v83, s0
	;; [unrolled: 2-line block ×3, first 2 shown]
	global_load_dwordx2 v[0:1], v[0:1], off
	s_clause 0x1
	global_load_dwordx2 v[10:11], v[104:105], off offset:128
	global_load_dwordx2 v[2:3], v[2:3], off offset:704
	global_load_dwordx2 v[8:9], v[8:9], off
	s_waitcnt vmcnt(2)
	v_mul_f32_e32 v13, v1, v11
	v_mul_f32_e32 v11, v0, v11
	s_waitcnt vmcnt(0)
	v_mul_f32_e32 v15, v9, v3
	v_mul_f32_e32 v3, v8, v3
	v_fmac_f32_e32 v13, v0, v10
	v_fma_f32 v14, v1, v10, -v11
	v_fmac_f32_e32 v15, v8, v2
	v_fma_f32 v16, v9, v2, -v3
	ds_write_b64 v145, v[13:14] offset:6272
	ds_write_b64 v145, v[15:16] offset:12992
.LBB0_3:
	s_or_b32 exec_lo, exec_lo, s2
	v_add_nc_u32_e32 v0, 0x1400, v145
	s_waitcnt lgkmcnt(0)
	s_barrier
	buffer_gl0_inv
	ds_read2_b64 v[16:19], v145 offset1:112
	ds_read2_b64 v[0:3], v0 offset0:32 offset1:200
	ds_read2_b64 v[24:27], v6 offset0:56 offset1:168
	;; [unrolled: 1-line block ×6, first 2 shown]
                                        ; implicit-def: $vgpr30
                                        ; implicit-def: $vgpr28
	s_and_saveexec_b32 s0, vcc_lo
	s_cbranch_execz .LBB0_5
; %bb.4:
	ds_read_b64 v[28:29], v145 offset:6272
	ds_read_b64 v[30:31], v145 offset:12992
.LBB0_5:
	s_or_b32 exec_lo, exec_lo, s0
	s_load_dwordx2 s[2:3], s[4:5], 0x8
	s_waitcnt lgkmcnt(0)
	v_sub_f32_e32 v37, v16, v2
	v_sub_f32_e32 v38, v17, v3
	;; [unrolled: 1-line block ×6, first 2 shown]
	v_add_co_u32 v85, s0, 0x70, v146
	v_add_co_ci_u32_e64 v32, null, 0, 0, s0
	v_add_co_u32 v84, null, 0xe0, v146
	v_add_co_u32 v33, null, 0x150, v146
	;; [unrolled: 1-line block ×3, first 2 shown]
	v_lshlrev_b32_e32 v34, 1, v146
	v_add_co_u32 v39, null, 0x310, v146
	v_fma_f32 v35, v16, 2.0, -v37
	v_fma_f32 v36, v17, 2.0, -v38
	;; [unrolled: 1-line block ×5, first 2 shown]
	v_sub_f32_e32 v18, v10, v20
	v_fma_f32 v25, v9, 2.0, -v27
	v_sub_f32_e32 v19, v11, v21
	v_sub_f32_e32 v8, v6, v12
	;; [unrolled: 1-line block ×7, first 2 shown]
	v_lshlrev_b32_e32 v151, 4, v146
	v_sub_f32_e32 v22, v4, v22
	v_sub_f32_e32 v23, v5, v23
	v_fma_f32 v16, v10, 2.0, -v18
	v_fma_f32 v17, v11, 2.0, -v19
	;; [unrolled: 1-line block ×6, first 2 shown]
	s_barrier
	v_lshlrev_b32_e32 v152, 4, v85
	buffer_gl0_inv
	v_lshlrev_b32_e32 v153, 4, v84
	ds_write_b128 v151, v[35:38]
	v_lshlrev_b32_e32 v38, 1, v85
	v_lshlrev_b32_e32 v37, 1, v84
	;; [unrolled: 1-line block ×6, first 2 shown]
	v_add_nc_u32_e32 v171, 0x460, v34
	v_add_nc_u32_e32 v173, 0x540, v34
	v_lshlrev_b32_e32 v155, 4, v39
	v_fma_f32 v20, v4, 2.0, -v22
	v_fma_f32 v21, v5, 2.0, -v23
	;; [unrolled: 1-line block ×4, first 2 shown]
	v_lshlrev_b32_e32 v4, 3, v34
	ds_write_b128 v152, v[40:43]
	ds_write_b128 v153, v[24:27]
	;; [unrolled: 1-line block ×4, first 2 shown]
	ds_write_b128 v4, v[6:9] offset:8960
	ds_write_b128 v4, v[10:13] offset:10752
	s_and_saveexec_b32 s0, vcc_lo
	s_cbranch_execz .LBB0_7
; %bb.6:
	ds_write_b128 v155, v[0:3]
.LBB0_7:
	s_or_b32 exec_lo, exec_lo, s0
	v_add_nc_u32_e32 v12, 0x1c00, v145
	v_add_nc_u32_e32 v4, 0x1400, v145
	;; [unrolled: 1-line block ×6, first 2 shown]
	s_waitcnt lgkmcnt(0)
	s_barrier
	buffer_gl0_inv
	ds_read2_b64 v[8:11], v145 offset1:112
	ds_read2_b64 v[4:7], v4 offset0:32 offset1:200
	ds_read2_b64 v[28:31], v12 offset0:56 offset1:168
	;; [unrolled: 1-line block ×6, first 2 shown]
	s_and_saveexec_b32 s0, vcc_lo
	s_cbranch_execz .LBB0_9
; %bb.8:
	ds_read_b64 v[0:1], v145 offset:6272
	ds_read_b64 v[2:3], v145 offset:12992
.LBB0_9:
	s_or_b32 exec_lo, exec_lo, s0
	v_and_b32_e32 v148, 1, v146
	v_lshlrev_b32_e32 v147, 1, v39
	v_lshlrev_b32_e32 v40, 3, v148
	v_and_or_b32 v39, 0xfc, v34, v148
	v_and_or_b32 v41, 0x3fc, v37, v148
	v_and_or_b32 v43, 0x7fc, v36, v148
	v_and_or_b32 v42, 0x3fc, v35, v148
	global_load_dwordx2 v[135:136], v40, s[2:3]
	v_and_or_b32 v40, 0x1fc, v38, v148
	v_and_or_b32 v44, 0x5fc, v171, v148
	;; [unrolled: 1-line block ×3, first 2 shown]
	v_lshlrev_b32_e32 v164, 3, v39
	v_lshlrev_b32_e32 v162, 3, v41
	;; [unrolled: 1-line block ×7, first 2 shown]
	s_waitcnt vmcnt(0) lgkmcnt(0)
	s_barrier
	buffer_gl0_inv
	v_mul_f32_e32 v39, v7, v136
	v_mul_f32_e32 v40, v6, v136
	;; [unrolled: 1-line block ×16, first 2 shown]
	v_fma_f32 v6, v6, v135, -v39
	v_fmac_f32_e32 v40, v7, v135
	v_fma_f32 v7, v28, v135, -v41
	v_fma_f32 v28, v30, v135, -v43
	;; [unrolled: 1-line block ×3, first 2 shown]
	v_fmac_f32_e32 v54, v3, v135
	v_fmac_f32_e32 v42, v29, v135
	v_fmac_f32_e32 v44, v31, v135
	v_fma_f32 v24, v24, v135, -v45
	v_fmac_f32_e32 v46, v25, v135
	v_fma_f32 v25, v26, v135, -v47
	v_fmac_f32_e32 v48, v27, v135
	;; [unrolled: 2-line block ×4, first 2 shown]
	v_sub_f32_e32 v2, v8, v6
	v_sub_f32_e32 v3, v9, v40
	;; [unrolled: 1-line block ×16, first 2 shown]
	v_fma_f32 v8, v8, 2.0, -v2
	v_fma_f32 v9, v9, 2.0, -v3
	;; [unrolled: 1-line block ×16, first 2 shown]
	ds_write2_b64 v164, v[8:9], v[2:3] offset1:2
	ds_write2_b64 v163, v[10:11], v[6:7] offset1:2
	;; [unrolled: 1-line block ×7, first 2 shown]
	s_and_saveexec_b32 s0, vcc_lo
	s_cbranch_execz .LBB0_11
; %bb.10:
	v_and_or_b32 v0, 0x6fc, v147, v148
	v_lshlrev_b32_e32 v0, 3, v0
	ds_write2_b64 v0, v[28:29], v[30:31] offset1:2
.LBB0_11:
	s_or_b32 exec_lo, exec_lo, s0
	v_add_nc_u32_e32 v8, 0x1c00, v145
	v_add_nc_u32_e32 v0, 0x1400, v145
	;; [unrolled: 1-line block ×6, first 2 shown]
	s_waitcnt lgkmcnt(0)
	s_barrier
	buffer_gl0_inv
	ds_read2_b64 v[4:7], v145 offset1:112
	ds_read2_b64 v[0:3], v0 offset0:32 offset1:200
	ds_read2_b64 v[24:27], v8 offset0:56 offset1:168
	;; [unrolled: 1-line block ×6, first 2 shown]
	s_and_saveexec_b32 s0, vcc_lo
	s_cbranch_execz .LBB0_13
; %bb.12:
	ds_read_b64 v[28:29], v145 offset:6272
	ds_read_b64 v[30:31], v145 offset:12992
.LBB0_13:
	s_or_b32 exec_lo, exec_lo, s0
	v_and_b32_e32 v150, 3, v146
	v_lshlrev_b32_e32 v39, 3, v150
	v_and_or_b32 v40, 0x1f8, v38, v150
	v_and_or_b32 v41, 0x3f8, v37, v150
	;; [unrolled: 1-line block ×4, first 2 shown]
	global_load_dwordx2 v[139:140], v39, s[2:3] offset:16
	v_and_or_b32 v39, 0xf8, v34, v150
	v_and_or_b32 v44, 0x5f8, v171, v150
	;; [unrolled: 1-line block ×3, first 2 shown]
	v_lshlrev_b32_e32 v170, 3, v40
	v_lshlrev_b32_e32 v169, 3, v41
	v_lshlrev_b32_e32 v172, 3, v39
	v_lshlrev_b32_e32 v168, 3, v42
	v_lshlrev_b32_e32 v167, 3, v43
	v_lshlrev_b32_e32 v166, 3, v44
	v_lshlrev_b32_e32 v165, 3, v45
	s_waitcnt vmcnt(0) lgkmcnt(0)
	s_barrier
	buffer_gl0_inv
	v_mul_f32_e32 v39, v3, v140
	v_mul_f32_e32 v40, v2, v140
	;; [unrolled: 1-line block ×16, first 2 shown]
	v_fma_f32 v2, v2, v139, -v39
	v_fmac_f32_e32 v40, v3, v139
	v_fma_f32 v30, v30, v139, -v53
	v_fmac_f32_e32 v54, v31, v139
	;; [unrolled: 2-line block ×8, first 2 shown]
	v_sub_f32_e32 v2, v4, v2
	v_sub_f32_e32 v3, v5, v40
	;; [unrolled: 1-line block ×16, first 2 shown]
	v_fma_f32 v4, v4, 2.0, -v2
	v_fma_f32 v5, v5, 2.0, -v3
	;; [unrolled: 1-line block ×16, first 2 shown]
	ds_write2_b64 v172, v[4:5], v[2:3] offset1:4
	ds_write2_b64 v170, v[6:7], v[16:17] offset1:4
	;; [unrolled: 1-line block ×7, first 2 shown]
	s_and_saveexec_b32 s0, vcc_lo
	s_cbranch_execz .LBB0_15
; %bb.14:
	v_and_or_b32 v0, 0x6f8, v147, v150
	v_lshlrev_b32_e32 v0, 3, v0
	ds_write2_b64 v0, v[28:29], v[30:31] offset1:4
.LBB0_15:
	s_or_b32 exec_lo, exec_lo, s0
	v_add_nc_u32_e32 v8, 0x1c00, v145
	v_add_nc_u32_e32 v0, 0x1400, v145
	;; [unrolled: 1-line block ×6, first 2 shown]
	s_waitcnt lgkmcnt(0)
	s_barrier
	buffer_gl0_inv
	ds_read2_b64 v[4:7], v145 offset1:112
	ds_read2_b64 v[0:3], v0 offset0:32 offset1:200
	ds_read2_b64 v[24:27], v8 offset0:56 offset1:168
	;; [unrolled: 1-line block ×6, first 2 shown]
	s_and_saveexec_b32 s0, vcc_lo
	s_cbranch_execz .LBB0_17
; %bb.16:
	ds_read_b64 v[28:29], v145 offset:6272
	ds_read_b64 v[30:31], v145 offset:12992
.LBB0_17:
	s_or_b32 exec_lo, exec_lo, s0
	v_and_b32_e32 v157, 7, v146
	v_lshlrev_b32_e32 v39, 3, v157
	v_and_or_b32 v34, 0xf0, v34, v157
	v_and_or_b32 v35, 0x3f0, v35, v157
	v_and_or_b32 v37, 0x3f0, v37, v157
	v_and_or_b32 v36, 0x7f0, v36, v157
	global_load_dwordx2 v[141:142], v39, s[2:3] offset:48
	v_and_or_b32 v38, 0x1f0, v38, v157
	v_and_or_b32 v39, 0x5f0, v171, v157
	;; [unrolled: 1-line block ×3, first 2 shown]
	v_lshlrev_b32_e32 v180, 3, v34
	v_lshlrev_b32_e32 v177, 3, v35
	;; [unrolled: 1-line block ×7, first 2 shown]
	s_waitcnt vmcnt(0) lgkmcnt(0)
	s_barrier
	buffer_gl0_inv
	v_mul_f32_e32 v34, v3, v142
	v_mul_f32_e32 v35, v2, v142
	;; [unrolled: 1-line block ×16, first 2 shown]
	v_fma_f32 v2, v2, v141, -v34
	v_fmac_f32_e32 v35, v3, v141
	v_fma_f32 v24, v24, v141, -v36
	v_fmac_f32_e32 v37, v25, v141
	v_fma_f32 v25, v26, v141, -v38
	v_fmac_f32_e32 v39, v27, v141
	v_fma_f32 v20, v20, v141, -v40
	v_fmac_f32_e32 v41, v21, v141
	v_fma_f32 v22, v22, v141, -v42
	v_fmac_f32_e32 v43, v23, v141
	v_fma_f32 v26, v16, v141, -v44
	v_fmac_f32_e32 v45, v17, v141
	v_fma_f32 v27, v18, v141, -v46
	v_fmac_f32_e32 v47, v19, v141
	v_fma_f32 v30, v30, v141, -v48
	v_fmac_f32_e32 v49, v31, v141
	v_sub_f32_e32 v2, v4, v2
	v_sub_f32_e32 v3, v5, v35
	;; [unrolled: 1-line block ×16, first 2 shown]
	v_fma_f32 v4, v4, 2.0, -v2
	v_fma_f32 v5, v5, 2.0, -v3
	;; [unrolled: 1-line block ×14, first 2 shown]
	ds_write2_b64 v180, v[4:5], v[2:3] offset1:8
	ds_write2_b64 v179, v[6:7], v[16:17] offset1:8
	;; [unrolled: 1-line block ×7, first 2 shown]
	s_and_saveexec_b32 s0, vcc_lo
	s_cbranch_execz .LBB0_19
; %bb.18:
	v_and_or_b32 v2, 0x6f0, v147, v157
	v_fma_f32 v1, v29, 2.0, -v41
	v_fma_f32 v0, v28, 2.0, -v40
	v_lshlrev_b32_e32 v2, 3, v2
	ds_write2_b64 v2, v[0:1], v[40:41] offset1:8
.LBB0_19:
	s_or_b32 exec_lo, exec_lo, s0
	v_and_b32_e32 v30, 15, v146
	s_waitcnt lgkmcnt(0)
	s_barrier
	buffer_gl0_inv
	v_add_nc_u32_e32 v34, 0xc00, v145
	v_lshlrev_b32_e32 v0, 4, v30
	v_add_nc_u32_e32 v4, 0x2000, v145
	v_add_nc_u32_e32 v35, 0x1400, v145
	;; [unrolled: 1-line block ×4, first 2 shown]
	global_load_dwordx4 v[12:15], v0, s[2:3] offset:112
	v_add_nc_u32_e32 v24, 0x1800, v145
	ds_read2_b64 v[0:3], v145 offset1:112
	ds_read_b64 v[28:29], v145 offset:12544
	ds_read2_b64 v[42:45], v34 offset0:64 offset1:176
	ds_read2_b64 v[4:7], v4 offset0:96 offset1:208
	ds_read2_b64 v[8:11], v35 offset0:32 offset1:144
	ds_read2_b64 v[16:19], v36 offset0:96 offset1:208
	ds_read2_b64 v[20:23], v20 offset0:64 offset1:176
	ds_read2_b64 v[24:27], v24 offset0:128 offset1:240
	v_lshrrev_b32_e32 v31, 4, v146
	v_lshrrev_b32_e32 v37, 4, v85
	;; [unrolled: 1-line block ×5, first 2 shown]
	v_mul_u32_u24_e32 v31, 48, v31
	v_mul_u32_u24_e32 v37, 48, v37
	;; [unrolled: 1-line block ×5, first 2 shown]
	v_or_b32_e32 v31, v31, v30
	v_or_b32_e32 v37, v37, v30
	v_or_b32_e32 v38, v38, v30
	v_or_b32_e32 v33, v33, v30
	v_or_b32_e32 v30, v32, v30
	v_lshlrev_b32_e32 v185, 3, v31
	v_lshlrev_b32_e32 v184, 3, v37
	;; [unrolled: 1-line block ×5, first 2 shown]
	v_add_nc_u32_e32 v39, 0x1c00, v145
	v_add_nc_u32_e32 v48, 0x2400, v145
	;; [unrolled: 1-line block ×3, first 2 shown]
	s_waitcnt vmcnt(0) lgkmcnt(0)
	s_barrier
	buffer_gl0_inv
	v_cmp_gt_u16_e64 s0, 16, v146
                                        ; implicit-def: $vgpr78
                                        ; implicit-def: $vgpr74
                                        ; implicit-def: $vgpr80
	v_mul_f32_e32 v30, v45, v13
	v_mul_f32_e32 v31, v44, v13
	;; [unrolled: 1-line block ×20, first 2 shown]
	v_fma_f32 v30, v44, v12, -v30
	v_fmac_f32_e32 v31, v45, v12
	v_fma_f32 v4, v4, v14, -v32
	v_fmac_f32_e32 v33, v5, v14
	;; [unrolled: 2-line block ×10, first 2 shown]
	v_add_f32_e32 v22, v30, v4
	v_add_f32_e32 v25, v31, v33
	v_sub_f32_e32 v23, v31, v33
	v_add_f32_e32 v24, v1, v31
	v_add_f32_e32 v28, v5, v6
	;; [unrolled: 1-line block ×4, first 2 shown]
	v_sub_f32_e32 v26, v30, v4
	v_sub_f32_e32 v29, v38, v47
	v_add_f32_e32 v30, v3, v38
	v_add_f32_e32 v38, v7, v8
	v_add_f32_e32 v46, v51, v53
	v_add_f32_e32 v52, v9, v20
	v_sub_f32_e32 v54, v55, v57
	v_add_f32_e32 v56, v19, v55
	v_add_f32_e32 v55, v55, v57
	;; [unrolled: 1-line block ×3, first 2 shown]
	v_sub_f32_e32 v63, v59, v61
	v_add_f32_e32 v64, v43, v59
	v_add_f32_e32 v59, v59, v61
	v_fma_f32 v0, -0.5, v22, v0
	v_fma_f32 v1, -0.5, v25, v1
	v_add_f32_e32 v27, v2, v5
	v_sub_f32_e32 v32, v5, v6
	v_fma_f32 v2, -0.5, v28, v2
	v_fmac_f32_e32 v3, -0.5, v31
	v_add_f32_e32 v37, v16, v7
	v_sub_f32_e32 v44, v51, v53
	v_add_f32_e32 v45, v17, v51
	v_sub_f32_e32 v50, v7, v8
	;; [unrolled: 2-line block ×3, first 2 shown]
	v_add_f32_e32 v4, v11, v4
	v_fma_f32 v10, -0.5, v38, v16
	v_fma_f32 v11, -0.5, v46, v17
	v_add_f32_e32 v51, v18, v9
	v_sub_f32_e32 v58, v9, v20
	v_add_f32_e32 v5, v24, v33
	v_fma_f32 v18, -0.5, v52, v18
	v_fmac_f32_e32 v19, -0.5, v55
	v_fma_f32 v42, -0.5, v62, v42
	v_fmac_f32_e32 v43, -0.5, v59
	v_fmamk_f32 v22, v23, 0x3f5db3d7, v0
	v_fmac_f32_e32 v0, 0xbf5db3d7, v23
	v_fmamk_f32 v23, v26, 0xbf5db3d7, v1
	v_fmac_f32_e32 v1, 0x3f5db3d7, v26
	v_add_f32_e32 v6, v27, v6
	v_add_f32_e32 v7, v30, v47
	v_fmamk_f32 v24, v29, 0x3f5db3d7, v2
	v_fmamk_f32 v25, v32, 0xbf5db3d7, v3
	v_fmac_f32_e32 v2, 0xbf5db3d7, v29
	v_fmac_f32_e32 v3, 0x3f5db3d7, v32
	v_add_f32_e32 v8, v37, v8
	v_add_f32_e32 v9, v45, v53
	v_fmamk_f32 v26, v44, 0x3f5db3d7, v10
	v_fmamk_f32 v27, v50, 0xbf5db3d7, v11
	v_add_f32_e32 v16, v51, v20
	v_add_f32_e32 v17, v56, v57
	;; [unrolled: 1-line block ×4, first 2 shown]
	v_fmac_f32_e32 v10, 0xbf5db3d7, v44
	v_fmac_f32_e32 v11, 0x3f5db3d7, v50
	v_fmamk_f32 v28, v54, 0x3f5db3d7, v18
	v_fmac_f32_e32 v18, 0xbf5db3d7, v54
	v_fmamk_f32 v29, v58, 0xbf5db3d7, v19
	;; [unrolled: 2-line block ×4, first 2 shown]
	v_fmac_f32_e32 v43, 0x3f5db3d7, v65
	ds_write2_b64 v185, v[4:5], v[22:23] offset1:16
	ds_write_b64 v185, v[0:1] offset:256
	ds_write2_b64 v184, v[6:7], v[24:25] offset1:16
	ds_write_b64 v184, v[2:3] offset:256
	;; [unrolled: 2-line block ×5, first 2 shown]
	s_waitcnt lgkmcnt(0)
	s_barrier
	buffer_gl0_inv
	ds_read2_b64 v[44:47], v145 offset1:112
	ds_read2_b64 v[68:71], v36 offset0:112 offset1:224
	ds_read2_b64 v[64:67], v34 offset0:96 offset1:208
	;; [unrolled: 1-line block ×6, first 2 shown]
	s_and_saveexec_b32 s1, s0
	s_cbranch_execz .LBB0_21
; %bb.20:
	v_add_nc_u32_e32 v0, 0x700, v145
	v_add_nc_u32_e32 v1, 0x1600, v145
	ds_read2_b64 v[38:41], v0 offset1:240
	v_add_nc_u32_e32 v0, 0x2500, v145
	ds_read_b64 v[80:81], v145 offset:13312
	ds_read2_b64 v[76:79], v1 offset1:240
	ds_read2_b64 v[72:75], v0 offset1:240
	s_waitcnt lgkmcnt(3)
	v_mov_b32_e32 v42, v38
	v_mov_b32_e32 v43, v39
.LBB0_21:
	s_or_b32 exec_lo, exec_lo, s1
	v_and_b32_e32 v0, 0xff, v146
	v_mov_b32_e32 v2, 0xaaab
	v_mov_b32_e32 v90, 0x150
	v_mul_lo_u16 v0, 0xab, v0
	v_lshrrev_b16 v86, 13, v0
	v_and_b32_e32 v0, 0xff, v85
	v_mul_lo_u16 v1, v86, 48
	v_mul_lo_u16 v0, 0xab, v0
	v_mul_u32_u24_sdwa v86, v86, v90 dst_sel:DWORD dst_unused:UNUSED_PAD src0_sel:WORD_0 src1_sel:DWORD
	v_sub_nc_u16 v1, v146, v1
	v_lshrrev_b16 v87, 13, v0
	v_mul_u32_u24_sdwa v0, v84, v2 dst_sel:DWORD dst_unused:UNUSED_PAD src0_sel:WORD_0 src1_sel:DWORD
	v_and_b32_e32 v88, 0xff, v1
	v_mul_lo_u16 v2, v87, 48
	v_lshrrev_b32_e32 v3, 21, v0
	v_mul_u32_u24_sdwa v87, v87, v90 dst_sel:DWORD dst_unused:UNUSED_PAD src0_sel:WORD_0 src1_sel:DWORD
	v_mad_u64_u32 v[0:1], null, v88, 48, s[2:3]
	v_mul_lo_u16 v3, v3, 48
	v_sub_nc_u16 v2, v85, v2
	v_add_lshl_u32 v187, v86, v88, 3
	v_sub_nc_u16 v149, v84, v3
	v_and_b32_e32 v89, 0xff, v2
	s_clause 0x2
	global_load_dwordx4 v[36:39], v[0:1], off offset:368
	global_load_dwordx4 v[32:35], v[0:1], off offset:384
	;; [unrolled: 1-line block ×3, first 2 shown]
	v_mul_lo_u16 v4, v149, 48
	v_mad_u64_u32 v[2:3], null, v89, 48, s[2:3]
	v_add_lshl_u32 v186, v87, v89, 3
	s_clause 0x1
	global_load_dwordx4 v[24:27], v[2:3], off offset:368
	global_load_dwordx4 v[20:23], v[2:3], off offset:384
	v_and_b32_e32 v0, 0xffff, v4
	v_add_co_u32 v8, s1, s2, v0
	v_add_co_ci_u32_e64 v9, null, s3, 0, s1
	s_clause 0x3
	global_load_dwordx4 v[16:19], v[2:3], off offset:400
	global_load_dwordx4 v[4:7], v[8:9], off offset:368
	;; [unrolled: 1-line block ×4, first 2 shown]
	s_waitcnt vmcnt(0) lgkmcnt(0)
	s_barrier
	buffer_gl0_inv
	v_mul_f32_e32 v86, v69, v37
	v_mul_f32_e32 v87, v68, v37
	;; [unrolled: 1-line block ×20, first 2 shown]
	v_fma_f32 v68, v68, v36, -v86
	v_mul_f32_e32 v143, v55, v17
	v_mul_f32_e32 v144, v54, v17
	;; [unrolled: 1-line block ×16, first 2 shown]
	v_fmac_f32_e32 v87, v69, v36
	v_fma_f32 v64, v64, v38, -v88
	v_fmac_f32_e32 v89, v65, v38
	v_fma_f32 v60, v60, v32, -v90
	;; [unrolled: 2-line block ×17, first 2 shown]
	v_fmac_f32_e32 v197, v73, v2
	v_add_f32_e32 v62, v68, v48
	v_add_f32_e32 v63, v87, v97
	v_sub_f32_e32 v48, v68, v48
	v_sub_f32_e32 v65, v87, v97
	v_add_f32_e32 v66, v64, v52
	v_add_f32_e32 v67, v89, v95
	v_sub_f32_e32 v52, v64, v52
	v_sub_f32_e32 v64, v89, v95
	;; [unrolled: 4-line block ×6, first 2 shown]
	v_add_f32_e32 v76, v40, v61
	v_add_f32_e32 v77, v191, v201
	;; [unrolled: 1-line block ×4, first 2 shown]
	v_sub_f32_e32 v40, v40, v61
	v_sub_f32_e32 v61, v191, v201
	;; [unrolled: 1-line block ×4, first 2 shown]
	v_add_f32_e32 v80, v51, v55
	v_add_f32_e32 v81, v195, v197
	v_sub_f32_e32 v51, v55, v51
	v_sub_f32_e32 v55, v197, v195
	v_add_f32_e32 v86, v66, v62
	v_add_f32_e32 v87, v67, v63
	v_sub_f32_e32 v88, v66, v62
	v_sub_f32_e32 v89, v67, v63
	;; [unrolled: 1-line block ×6, first 2 shown]
	v_add_f32_e32 v90, v56, v52
	v_add_f32_e32 v91, v60, v64
	v_sub_f32_e32 v92, v56, v52
	v_sub_f32_e32 v93, v60, v64
	;; [unrolled: 1-line block ×4, first 2 shown]
	v_add_f32_e32 v94, v72, v70
	v_add_f32_e32 v95, v73, v71
	v_sub_f32_e32 v96, v72, v70
	v_sub_f32_e32 v97, v73, v71
	;; [unrolled: 1-line block ×6, first 2 shown]
	v_add_f32_e32 v98, v57, v53
	v_add_f32_e32 v99, v58, v54
	v_sub_f32_e32 v100, v57, v53
	v_sub_f32_e32 v101, v58, v54
	;; [unrolled: 1-line block ×4, first 2 shown]
	v_add_f32_e32 v102, v78, v76
	v_add_f32_e32 v103, v79, v77
	v_sub_f32_e32 v56, v48, v56
	v_sub_f32_e32 v60, v65, v60
	v_sub_f32_e32 v57, v49, v57
	v_sub_f32_e32 v58, v50, v58
	v_sub_f32_e32 v137, v78, v76
	v_sub_f32_e32 v138, v79, v77
	v_sub_f32_e32 v76, v76, v80
	v_sub_f32_e32 v77, v77, v81
	v_sub_f32_e32 v78, v80, v78
	v_sub_f32_e32 v79, v81, v79
	v_add_f32_e32 v143, v51, v41
	v_add_f32_e32 v144, v55, v59
	v_sub_f32_e32 v188, v51, v41
	v_sub_f32_e32 v189, v55, v59
	v_sub_f32_e32 v190, v41, v40
	v_sub_f32_e32 v59, v59, v61
	v_add_f32_e32 v68, v68, v86
	v_add_f32_e32 v69, v69, v87
	;; [unrolled: 1-line block ×4, first 2 shown]
	v_mul_f32_e32 v41, 0x3f4a47b2, v62
	v_mul_f32_e32 v62, 0x3f4a47b2, v63
	;; [unrolled: 1-line block ×8, first 2 shown]
	v_add_f32_e32 v74, v74, v94
	v_add_f32_e32 v75, v75, v95
	v_add_f32_e32 v49, v98, v49
	v_add_f32_e32 v50, v99, v50
	v_mul_f32_e32 v70, 0x3f4a47b2, v70
	v_mul_f32_e32 v71, 0x3f4a47b2, v71
	;; [unrolled: 1-line block ×8, first 2 shown]
	v_add_f32_e32 v80, v80, v102
	v_add_f32_e32 v81, v81, v103
	v_sub_f32_e32 v51, v40, v51
	v_sub_f32_e32 v55, v61, v55
	v_add_f32_e32 v101, v143, v40
	v_add_f32_e32 v61, v144, v61
	v_mul_f32_e32 v76, 0x3f4a47b2, v76
	v_mul_f32_e32 v77, 0x3f4a47b2, v77
	;; [unrolled: 1-line block ×8, first 2 shown]
	v_add_f32_e32 v44, v44, v68
	v_add_f32_e32 v45, v45, v69
	v_fmamk_f32 v66, v66, 0x3d64c772, v41
	v_fmamk_f32 v67, v67, 0x3d64c772, v62
	v_fma_f32 v63, 0x3f3bfb3b, v88, -v63
	v_fma_f32 v86, 0x3f3bfb3b, v89, -v86
	;; [unrolled: 1-line block ×4, first 2 shown]
	v_fmamk_f32 v89, v56, 0x3eae86e6, v87
	v_fmamk_f32 v191, v60, 0x3eae86e6, v90
	v_fma_f32 v87, 0x3f5ff5aa, v52, -v87
	v_fma_f32 v52, 0x3f5ff5aa, v64, -v90
	;; [unrolled: 1-line block ×4, first 2 shown]
	v_add_f32_e32 v46, v46, v74
	v_add_f32_e32 v47, v47, v75
	v_fmamk_f32 v64, v72, 0x3d64c772, v70
	v_fmamk_f32 v72, v73, 0x3d64c772, v71
	v_fma_f32 v73, 0x3f3bfb3b, v96, -v93
	v_fma_f32 v90, 0x3f3bfb3b, v97, -v94
	;; [unrolled: 1-line block ×3, first 2 shown]
	v_fmamk_f32 v91, v57, 0x3eae86e6, v95
	v_fmamk_f32 v92, v58, 0x3eae86e6, v98
	v_fma_f32 v93, 0x3f5ff5aa, v53, -v95
	v_fma_f32 v94, 0x3f5ff5aa, v54, -v98
	v_fma_f32 v95, 0xbeae86e6, v57, -v99
	v_fma_f32 v96, 0xbeae86e6, v58, -v100
	v_add_f32_e32 v40, v42, v80
	v_add_f32_e32 v41, v43, v81
	v_fma_f32 v71, 0xbf3bfb3b, v97, -v71
	v_fmamk_f32 v42, v78, 0x3d64c772, v76
	v_fmamk_f32 v43, v79, 0x3d64c772, v77
	v_fma_f32 v53, 0x3f3bfb3b, v137, -v102
	v_fma_f32 v54, 0x3f3bfb3b, v138, -v103
	;; [unrolled: 1-line block ×4, first 2 shown]
	v_fmamk_f32 v78, v51, 0x3eae86e6, v143
	v_fmamk_f32 v79, v55, 0x3eae86e6, v144
	v_fma_f32 v97, 0x3f5ff5aa, v190, -v143
	v_fma_f32 v98, 0x3f5ff5aa, v59, -v144
	;; [unrolled: 1-line block ×4, first 2 shown]
	v_fmamk_f32 v51, v68, 0xbf955555, v44
	v_fmamk_f32 v55, v69, 0xbf955555, v45
	v_fmac_f32_e32 v89, 0x3ee1c552, v48
	v_fmac_f32_e32 v87, 0x3ee1c552, v48
	;; [unrolled: 1-line block ×3, first 2 shown]
	v_fmamk_f32 v48, v74, 0xbf955555, v46
	v_fmamk_f32 v59, v75, 0xbf955555, v47
	v_fmac_f32_e32 v91, 0x3ee1c552, v49
	v_fmac_f32_e32 v92, 0x3ee1c552, v50
	;; [unrolled: 1-line block ×6, first 2 shown]
	v_fmamk_f32 v49, v80, 0xbf955555, v40
	v_fmamk_f32 v50, v81, 0xbf955555, v41
	v_fmac_f32_e32 v191, 0x3ee1c552, v65
	v_fmac_f32_e32 v52, 0x3ee1c552, v65
	;; [unrolled: 1-line block ×9, first 2 shown]
	v_add_f32_e32 v61, v66, v51
	v_add_f32_e32 v65, v67, v55
	;; [unrolled: 1-line block ×19, first 2 shown]
	v_sub_f32_e32 v43, v65, v89
	v_add_f32_e32 v48, v60, v67
	v_sub_f32_e32 v49, v55, v56
	v_add_f32_e32 v51, v87, v66
	v_sub_f32_e32 v53, v66, v87
	v_sub_f32_e32 v54, v67, v60
	v_add_f32_e32 v55, v56, v55
	v_sub_f32_e32 v56, v61, v191
	v_add_f32_e32 v57, v89, v65
	v_add_f32_e32 v58, v92, v64
	v_sub_f32_e32 v59, v68, v91
	v_add_f32_e32 v60, v96, v70
	v_sub_f32_e32 v61, v71, v95
	v_sub_f32_e32 v62, v69, v94
	v_add_f32_e32 v72, v94, v69
	v_sub_f32_e32 v74, v70, v96
	v_add_f32_e32 v75, v95, v71
	;; [unrolled: 2-line block ×3, first 2 shown]
	v_add_f32_e32 v100, v79, v80
	v_sub_f32_e32 v101, v81, v78
	v_add_f32_e32 v64, v102, v90
	v_sub_f32_e32 v65, v103, v99
	v_sub_f32_e32 v66, v86, v98
	v_add_f32_e32 v67, v97, v88
	v_add_f32_e32 v68, v98, v86
	v_sub_f32_e32 v69, v88, v97
	v_sub_f32_e32 v70, v90, v102
	v_add_f32_e32 v71, v99, v103
	v_sub_f32_e32 v143, v80, v79
	v_add_f32_e32 v144, v78, v81
	;; [unrolled: 2-line block ×3, first 2 shown]
	v_add_f32_e32 v63, v93, v73
	v_sub_f32_e32 v73, v73, v93
	ds_write2_b64 v187, v[44:45], v[42:43] offset1:48
	ds_write2_b64 v187, v[48:49], v[50:51] offset0:96 offset1:144
	ds_write2_b64 v187, v[52:53], v[54:55] offset0:192 offset1:240
	ds_write_b64 v187, v[56:57] offset:2304
	ds_write2_b64 v186, v[46:47], v[58:59] offset1:48
	ds_write2_b64 v186, v[60:61], v[62:63] offset0:96 offset1:144
	ds_write2_b64 v186, v[72:73], v[74:75] offset0:192 offset1:240
	ds_write_b64 v186, v[76:77] offset:2304
	s_and_saveexec_b32 s1, s0
	s_cbranch_execz .LBB0_23
; %bb.22:
	v_mov_b32_e32 v42, 3
	v_lshlrev_b32_sdwa v42, v42, v149 dst_sel:DWORD dst_unused:UNUSED_PAD src0_sel:DWORD src1_sel:WORD_0
	v_add_nc_u32_e32 v43, 0x2800, v42
	v_add_nc_u32_e32 v44, 0x3000, v42
	ds_write2_b64 v43, v[40:41], v[100:101] offset0:64 offset1:112
	ds_write2_b64 v43, v[64:65], v[66:67] offset0:160 offset1:208
	ds_write2_b64 v44, v[68:69], v[70:71] offset1:48
	ds_write_b64 v42, v[143:144] offset:13056
.LBB0_23:
	s_or_b32 exec_lo, exec_lo, s1
	v_lshlrev_b32_e32 v40, 5, v146
	v_lshlrev_b32_e32 v44, 5, v85
	s_waitcnt lgkmcnt(0)
	s_barrier
	buffer_gl0_inv
	v_add_co_u32 v42, s1, s2, v40
	v_add_co_ci_u32_e64 v43, null, s3, 0, s1
	v_lshlrev_b32_e32 v54, 5, v84
	v_add_co_u32 v40, s1, 0xa70, v42
	v_add_co_ci_u32_e64 v41, s1, 0, v43, s1
	v_add_co_u32 v42, s1, 0x800, v42
	v_add_co_ci_u32_e64 v43, s1, 0, v43, s1
	v_add_co_u32 v52, s1, s2, v44
	v_add_co_ci_u32_e64 v53, null, s3, 0, s1
	s_clause 0x1
	global_load_dwordx4 v[48:51], v[42:43], off offset:624
	global_load_dwordx4 v[44:47], v[40:41], off offset:16
	v_add_co_u32 v40, s1, 0xa70, v52
	v_add_co_ci_u32_e64 v41, s1, 0, v53, s1
	v_add_co_u32 v42, s1, 0x800, v52
	v_add_co_ci_u32_e64 v43, s1, 0, v53, s1
	v_add_co_u32 v56, s1, s2, v54
	v_add_co_ci_u32_e64 v57, null, s3, 0, s1
	s_clause 0x1
	global_load_dwordx4 v[60:63], v[42:43], off offset:624
	global_load_dwordx4 v[52:55], v[40:41], off offset:16
	v_add_co_u32 v40, s1, 0x800, v56
	v_add_co_ci_u32_e64 v41, s1, 0, v57, s1
	v_add_co_u32 v42, s1, 0xa70, v56
	v_add_co_ci_u32_e64 v43, s1, 0, v57, s1
	s_clause 0x1
	global_load_dwordx4 v[56:59], v[40:41], off offset:624
	global_load_dwordx4 v[40:43], v[42:43], off offset:16
	v_add_nc_u32_e32 v80, 0x400, v145
	v_add_nc_u32_e32 v81, 0x1400, v145
	;; [unrolled: 1-line block ×5, first 2 shown]
	ds_read2_b64 v[72:75], v80 offset0:96 offset1:208
	ds_read2_b64 v[88:91], v81 offset0:32 offset1:144
	;; [unrolled: 1-line block ×4, first 2 shown]
	v_add_nc_u32_e32 v87, 0x2000, v145
	ds_read2_b64 v[188:191], v85 offset0:64 offset1:176
	ds_read2_b64 v[192:195], v87 offset0:96 offset1:208
	ds_read2_b64 v[76:79], v145 offset1:112
	ds_read_b64 v[102:103], v145 offset:12544
	v_add_co_u32 v137, s1, 0x3000, v82
	v_add_co_ci_u32_e64 v138, s1, 0, v83, s1
	s_waitcnt vmcnt(5) lgkmcnt(7)
	v_mul_f32_e32 v196, v75, v49
	v_mul_f32_e32 v197, v74, v49
	s_waitcnt lgkmcnt(6)
	v_mul_f32_e32 v198, v89, v51
	v_mul_f32_e32 v199, v88, v51
	s_waitcnt vmcnt(4) lgkmcnt(5)
	v_mul_f32_e32 v200, v95, v45
	v_mul_f32_e32 v201, v94, v45
	s_waitcnt lgkmcnt(4)
	v_mul_f32_e32 v202, v97, v47
	v_mul_f32_e32 v203, v96, v47
	v_fma_f32 v74, v74, v48, -v196
	v_fmac_f32_e32 v197, v75, v48
	v_fma_f32 v75, v88, v50, -v198
	v_fmac_f32_e32 v199, v89, v50
	v_fma_f32 v94, v94, v44, -v200
	s_waitcnt vmcnt(3) lgkmcnt(3)
	v_mul_f32_e32 v204, v189, v61
	v_mul_f32_e32 v205, v188, v61
	;; [unrolled: 1-line block ×4, first 2 shown]
	s_waitcnt vmcnt(2) lgkmcnt(2)
	v_mul_f32_e32 v208, v193, v53
	v_mul_f32_e32 v209, v192, v53
	;; [unrolled: 1-line block ×4, first 2 shown]
	v_fmac_f32_e32 v201, v95, v44
	v_fma_f32 v196, v96, v46, -v202
	v_fmac_f32_e32 v203, v97, v46
	s_waitcnt vmcnt(1)
	v_mul_f32_e32 v212, v191, v57
	v_mul_f32_e32 v213, v190, v57
	;; [unrolled: 1-line block ×4, first 2 shown]
	s_waitcnt vmcnt(0)
	v_mul_f32_e32 v216, v195, v41
	v_mul_f32_e32 v217, v194, v41
	s_waitcnt lgkmcnt(0)
	v_mul_f32_e32 v218, v103, v43
	v_mul_f32_e32 v219, v102, v43
	v_fma_f32 v88, v188, v60, -v204
	v_fmac_f32_e32 v205, v189, v60
	v_fma_f32 v89, v90, v62, -v206
	v_fmac_f32_e32 v207, v91, v62
	;; [unrolled: 2-line block ×8, first 2 shown]
	v_add_f32_e32 v92, v76, v74
	v_add_f32_e32 v93, v75, v94
	;; [unrolled: 1-line block ×6, first 2 shown]
	v_sub_f32_e32 v191, v197, v203
	v_sub_f32_e32 v96, v74, v75
	;; [unrolled: 1-line block ×7, first 2 shown]
	v_add_f32_e32 v206, v78, v88
	v_add_f32_e32 v208, v89, v95
	;; [unrolled: 1-line block ×8, first 2 shown]
	v_sub_f32_e32 v234, v90, v91
	v_add_f32_e32 v236, v90, v194
	v_sub_f32_e32 v237, v91, v90
	v_add_f32_e32 v239, v73, v213
	v_add_f32_e32 v240, v215, v217
	v_sub_f32_e32 v241, v90, v194
	v_sub_f32_e32 v90, v213, v215
	;; [unrolled: 1-line block ×3, first 2 shown]
	v_add_f32_e32 v244, v213, v219
	v_add_f32_e32 v92, v92, v75
	v_fma_f32 v74, -0.5, v93, v76
	v_fma_f32 v75, -0.5, v189, v77
	v_sub_f32_e32 v193, v199, v201
	v_sub_f32_e32 v190, v197, v199
	;; [unrolled: 1-line block ×3, first 2 shown]
	v_fma_f32 v76, -0.5, v99, v76
	v_add_f32_e32 v93, v188, v199
	v_fma_f32 v77, -0.5, v202, v77
	v_sub_f32_e32 v210, v205, v211
	v_sub_f32_e32 v212, v207, v209
	;; [unrolled: 1-line block ×10, first 2 shown]
	v_add_f32_e32 v246, v96, v97
	v_add_f32_e32 v247, v102, v103
	;; [unrolled: 1-line block ×3, first 2 shown]
	v_fma_f32 v88, -0.5, v208, v78
	v_fma_f32 v78, -0.5, v218, v78
	v_add_f32_e32 v97, v222, v207
	v_fma_f32 v89, -0.5, v223, v79
	v_fmac_f32_e32 v79, -0.5, v228
	v_add_f32_e32 v99, v230, v91
	v_fma_f32 v102, -0.5, v231, v72
	v_fma_f32 v72, -0.5, v236, v72
	v_add_f32_e32 v189, v239, v215
	v_fma_f32 v103, -0.5, v240, v73
	v_add_f32_e32 v208, v90, v243
	v_fmac_f32_e32 v73, -0.5, v244
	v_fmamk_f32 v90, v191, 0x3f737871, v74
	v_fmamk_f32 v91, v195, 0xbf737871, v75
	v_sub_f32_e32 v197, v199, v197
	v_sub_f32_e32 v204, v201, v203
	v_add_f32_e32 v199, v190, v200
	v_add_f32_e32 v190, v92, v94
	v_fmamk_f32 v92, v193, 0xbf737871, v76
	v_add_f32_e32 v201, v93, v201
	v_fmamk_f32 v93, v198, 0x3f737871, v77
	v_fmac_f32_e32 v76, 0x3f737871, v193
	v_fmac_f32_e32 v77, 0xbf737871, v198
	;; [unrolled: 1-line block ×4, first 2 shown]
	v_sub_f32_e32 v221, v95, v192
	v_sub_f32_e32 v226, v205, v207
	;; [unrolled: 1-line block ×9, first 2 shown]
	v_add_f32_e32 v200, v214, v216
	v_add_f32_e32 v214, v96, v95
	v_fmamk_f32 v94, v210, 0x3f737871, v88
	v_fmac_f32_e32 v88, 0xbf737871, v210
	v_fmamk_f32 v96, v212, 0xbf737871, v78
	v_fmac_f32_e32 v78, 0x3f737871, v212
	v_add_f32_e32 v209, v97, v209
	v_fmamk_f32 v95, v224, 0xbf737871, v89
	v_fmac_f32_e32 v89, 0x3f737871, v224
	v_fmamk_f32 v97, v225, 0x3f737871, v79
	v_fmac_f32_e32 v79, 0xbf737871, v225
	;; [unrolled: 5-line block ×4, first 2 shown]
	v_fmac_f32_e32 v90, 0x3f167918, v193
	v_fmac_f32_e32 v91, 0xbf167918, v198
	v_add_f32_e32 v197, v197, v204
	v_fmac_f32_e32 v92, 0x3f167918, v191
	v_fmac_f32_e32 v93, 0xbf167918, v195
	;; [unrolled: 1-line block ×6, first 2 shown]
	v_add_f32_e32 v202, v220, v221
	v_add_f32_e32 v204, v226, v227
	;; [unrolled: 1-line block ×6, first 2 shown]
	v_fmac_f32_e32 v94, 0x3f167918, v212
	v_fmac_f32_e32 v88, 0xbf167918, v212
	;; [unrolled: 1-line block ×24, first 2 shown]
	v_add_f32_e32 v190, v190, v196
	v_add_f32_e32 v191, v201, v203
	;; [unrolled: 1-line block ×6, first 2 shown]
	v_fmac_f32_e32 v94, 0x3e9e377a, v200
	v_fmac_f32_e32 v88, 0x3e9e377a, v200
	;; [unrolled: 1-line block ×16, first 2 shown]
	ds_write_b64 v145, v[90:91] offset:2688
	ds_write_b64 v145, v[92:93] offset:5376
	;; [unrolled: 1-line block ×4, first 2 shown]
	ds_write2_b64 v145, v[190:191], v[192:193] offset1:112
	ds_write_b64 v145, v[96:97] offset:6272
	ds_write_b64 v145, v[78:79] offset:8960
	;; [unrolled: 1-line block ×4, first 2 shown]
	ds_write2_b64 v85, v[94:95], v[98:99] offset0:64 offset1:176
	ds_write_b64 v145, v[188:189] offset:7168
	ds_write_b64 v145, v[72:73] offset:9856
	;; [unrolled: 1-line block ×3, first 2 shown]
	s_waitcnt lgkmcnt(0)
	s_barrier
	buffer_gl0_inv
	global_load_dwordx2 v[74:75], v[137:138], off offset:1152
	v_add_co_u32 v72, s1, 0x3480, v82
	v_add_co_ci_u32_e64 v73, s1, 0, v83, s1
	v_add_co_u32 v76, s1, 0x4800, v82
	v_add_co_ci_u32_e64 v77, s1, 0, v83, s1
	global_load_dwordx2 v[200:201], v[72:73], off offset:896
	v_add_co_u32 v78, s1, 0x5000, v82
	v_add_co_ci_u32_e64 v79, s1, 0, v83, s1
	v_add_co_u32 v88, s1, 0x3800, v82
	v_add_co_ci_u32_e64 v89, s1, 0, v83, s1
	;; [unrolled: 2-line block ×4, first 2 shown]
	s_clause 0x3
	global_load_dwordx2 v[202:203], v[76:77], off offset:1728
	global_load_dwordx2 v[204:205], v[72:73], off offset:1792
	;; [unrolled: 1-line block ×4, first 2 shown]
	v_add_co_u32 v78, s1, 0x6000, v82
	v_add_co_ci_u32_e64 v79, s1, 0, v83, s1
	s_clause 0x7
	global_load_dwordx2 v[82:83], v[88:89], off offset:1792
	global_load_dwordx2 v[210:211], v[90:91], off offset:320
	global_load_dwordx2 v[212:213], v[92:93], off offset:640
	global_load_dwordx2 v[214:215], v[92:93], off offset:1536
	global_load_dwordx2 v[216:217], v[78:79], off offset:64
	global_load_dwordx2 v[218:219], v[90:91], off offset:1216
	global_load_dwordx2 v[220:221], v[76:77], off offset:384
	global_load_dwordx2 v[222:223], v[78:79], off offset:960
	ds_read2_b64 v[76:79], v145 offset1:112
	v_add_nc_u32_e32 v224, 0x800, v145
	v_add_nc_u32_e32 v225, 0x1000, v145
	s_waitcnt vmcnt(13) lgkmcnt(0)
	v_mul_f32_e32 v88, v77, v75
	v_mul_f32_e32 v89, v76, v75
	v_fma_f32 v88, v76, v74, -v88
	v_fmac_f32_e32 v89, v77, v74
	v_add_nc_u32_e32 v77, 0x1c00, v145
	v_add_nc_u32_e32 v76, 0x2400, v145
	s_waitcnt vmcnt(12)
	v_mul_f32_e32 v74, v79, v201
	v_mul_f32_e32 v75, v78, v201
	ds_write_b64 v145, v[88:89]
	ds_read2_b64 v[88:91], v81 offset0:32 offset1:200
	ds_read2_b64 v[92:95], v77 offset0:56 offset1:168
	;; [unrolled: 1-line block ×6, first 2 shown]
	v_fma_f32 v74, v78, v200, -v74
	v_fmac_f32_e32 v75, v79, v200
	s_waitcnt vmcnt(11) lgkmcnt(5)
	v_mul_f32_e32 v78, v91, v203
	v_mul_f32_e32 v79, v90, v203
	s_waitcnt vmcnt(9) lgkmcnt(4)
	v_mul_f32_e32 v200, v93, v207
	v_mul_f32_e32 v201, v92, v207
	s_waitcnt lgkmcnt(3)
	v_mul_f32_e32 v226, v97, v205
	v_mul_f32_e32 v203, v96, v205
	s_waitcnt vmcnt(8)
	v_mul_f32_e32 v227, v95, v209
	v_mul_f32_e32 v205, v94, v209
	s_waitcnt vmcnt(7)
	v_mul_f32_e32 v228, v99, v83
	v_mul_f32_e32 v207, v98, v83
	s_waitcnt vmcnt(6) lgkmcnt(2)
	v_mul_f32_e32 v229, v189, v211
	v_mul_f32_e32 v83, v188, v211
	s_waitcnt vmcnt(5) lgkmcnt(1)
	v_mul_f32_e32 v230, v193, v213
	v_mul_f32_e32 v209, v192, v213
	s_waitcnt vmcnt(2)
	v_mul_f32_e32 v231, v191, v219
	v_mul_f32_e32 v211, v190, v219
	;; [unrolled: 1-line block ×4, first 2 shown]
	s_waitcnt lgkmcnt(0)
	v_mul_f32_e32 v233, v197, v217
	v_mul_f32_e32 v215, v196, v217
	s_waitcnt vmcnt(1)
	v_mul_f32_e32 v234, v89, v221
	v_mul_f32_e32 v217, v88, v221
	s_waitcnt vmcnt(0)
	v_mul_f32_e32 v221, v199, v223
	v_mul_f32_e32 v219, v198, v223
	v_fma_f32 v78, v90, v202, -v78
	v_fmac_f32_e32 v79, v91, v202
	v_fma_f32 v200, v92, v206, -v200
	v_fmac_f32_e32 v201, v93, v206
	;; [unrolled: 2-line block ×12, first 2 shown]
	ds_write2_b64 v86, v[78:79], v[200:201] offset0:72 offset1:184
	ds_write2_b64 v145, v[74:75], v[202:203] offset0:112 offset1:224
	;; [unrolled: 1-line block ×6, first 2 shown]
	ds_write_b64 v145, v[218:219] offset:12096
	s_and_saveexec_b32 s2, vcc_lo
	s_cbranch_execz .LBB0_25
; %bb.24:
	v_add_co_u32 v74, s1, 0x1800, v72
	v_add_co_ci_u32_e64 v75, s1, 0, v73, s1
	v_add_co_u32 v72, s1, 0x3000, v72
	v_add_co_ci_u32_e64 v73, s1, 0, v73, s1
	s_clause 0x1
	global_load_dwordx2 v[74:75], v[74:75], off offset:128
	global_load_dwordx2 v[72:73], v[72:73], off offset:704
	ds_read_b64 v[78:79], v145 offset:6272
	ds_read_b64 v[82:83], v145 offset:12992
	s_waitcnt vmcnt(1) lgkmcnt(1)
	v_mul_f32_e32 v86, v79, v75
	v_mul_f32_e32 v87, v78, v75
	s_waitcnt vmcnt(0) lgkmcnt(0)
	v_mul_f32_e32 v88, v83, v73
	v_mul_f32_e32 v75, v82, v73
	v_fma_f32 v86, v78, v74, -v86
	v_fmac_f32_e32 v87, v79, v74
	v_fma_f32 v74, v82, v72, -v88
	v_fmac_f32_e32 v75, v83, v72
	ds_write_b64 v145, v[86:87] offset:6272
	ds_write_b64 v145, v[74:75] offset:12992
.LBB0_25:
	s_or_b32 exec_lo, exec_lo, s2
	s_waitcnt lgkmcnt(0)
	s_barrier
	buffer_gl0_inv
	ds_read2_b64 v[88:91], v145 offset1:112
	ds_read2_b64 v[72:75], v81 offset0:32 offset1:200
	ds_read2_b64 v[96:99], v77 offset0:56 offset1:168
	;; [unrolled: 1-line block ×6, first 2 shown]
	v_lshlrev_b32_e32 v188, 3, v171
	v_lshlrev_b32_e32 v171, 3, v173
	s_and_saveexec_b32 s1, vcc_lo
	s_cbranch_execz .LBB0_27
; %bb.26:
	ds_read_b64 v[102:103], v145 offset:6272
	ds_read_b64 v[100:101], v145 offset:12992
.LBB0_27:
	s_or_b32 exec_lo, exec_lo, s1
	s_waitcnt lgkmcnt(4)
	v_sub_f32_e32 v195, v90, v96
	v_sub_f32_e32 v196, v91, v97
	s_waitcnt lgkmcnt(3)
	v_sub_f32_e32 v98, v80, v98
	v_sub_f32_e32 v99, v81, v99
	;; [unrolled: 1-line block ×4, first 2 shown]
	v_fma_f32 v193, v90, 2.0, -v195
	v_fma_f32 v194, v91, 2.0, -v196
	;; [unrolled: 1-line block ×3, first 2 shown]
	s_waitcnt lgkmcnt(2)
	v_sub_f32_e32 v90, v82, v92
	v_fma_f32 v97, v81, 2.0, -v99
	v_sub_f32_e32 v91, v83, v93
	s_waitcnt lgkmcnt(0)
	v_sub_f32_e32 v80, v78, v84
	v_sub_f32_e32 v81, v79, v85
	;; [unrolled: 1-line block ×8, first 2 shown]
	v_fma_f32 v189, v88, 2.0, -v191
	v_fma_f32 v190, v89, 2.0, -v192
	;; [unrolled: 1-line block ×12, first 2 shown]
	s_barrier
	buffer_gl0_inv
	ds_write_b128 v151, v[189:192]
	ds_write_b128 v152, v[193:196]
	;; [unrolled: 1-line block ×7, first 2 shown]
	s_and_saveexec_b32 s1, vcc_lo
	s_cbranch_execz .LBB0_29
; %bb.28:
	ds_write_b128 v155, v[72:75]
.LBB0_29:
	s_or_b32 exec_lo, exec_lo, s1
	v_add_nc_u32_e32 v80, 0x1c00, v145
	v_add_nc_u32_e32 v76, 0x1400, v145
	v_add_nc_u32_e32 v81, 0x400, v145
	v_add_nc_u32_e32 v82, 0x2400, v145
	v_add_nc_u32_e32 v83, 0xc00, v145
	v_add_nc_u32_e32 v92, 0x2800, v145
	s_waitcnt lgkmcnt(0)
	s_barrier
	buffer_gl0_inv
	ds_read2_b64 v[84:87], v145 offset1:112
	ds_read2_b64 v[76:79], v76 offset0:32 offset1:200
	ds_read2_b64 v[100:103], v80 offset0:56 offset1:168
	;; [unrolled: 1-line block ×6, first 2 shown]
	s_and_saveexec_b32 s1, vcc_lo
	s_cbranch_execz .LBB0_31
; %bb.30:
	ds_read_b64 v[72:73], v145 offset:6272
	ds_read_b64 v[74:75], v145 offset:12992
.LBB0_31:
	s_or_b32 exec_lo, exec_lo, s1
	s_waitcnt lgkmcnt(5)
	v_mul_f32_e32 v151, v136, v79
	v_mul_f32_e32 v152, v136, v78
	s_waitcnt lgkmcnt(4)
	v_mul_f32_e32 v153, v136, v101
	v_mul_f32_e32 v154, v136, v100
	s_waitcnt lgkmcnt(0)
	v_mul_f32_e32 v155, v136, v75
	v_fmac_f32_e32 v151, v135, v78
	v_fma_f32 v79, v135, v79, -v152
	v_mul_f32_e32 v152, v136, v103
	v_mul_f32_e32 v78, v136, v102
	v_fmac_f32_e32 v153, v135, v100
	v_mul_f32_e32 v100, v136, v97
	v_fma_f32 v101, v135, v101, -v154
	v_fmac_f32_e32 v152, v135, v102
	v_fma_f32 v102, v135, v103, -v78
	v_mul_f32_e32 v78, v136, v96
	v_fmac_f32_e32 v100, v135, v96
	v_mul_f32_e32 v96, v136, v99
	v_mul_f32_e32 v103, v136, v98
	;; [unrolled: 1-line block ×3, first 2 shown]
	v_fma_f32 v97, v135, v97, -v78
	v_mul_f32_e32 v78, v136, v92
	v_fmac_f32_e32 v96, v135, v98
	v_fma_f32 v98, v135, v99, -v103
	v_mul_f32_e32 v103, v136, v95
	v_fmac_f32_e32 v154, v135, v92
	v_fma_f32 v99, v135, v93, -v78
	v_mul_f32_e32 v93, v136, v74
	v_mul_f32_e32 v92, v136, v94
	v_fmac_f32_e32 v103, v135, v94
	v_sub_f32_e32 v78, v84, v151
	v_fmac_f32_e32 v155, v135, v74
	v_fma_f32 v151, v135, v75, -v93
	v_sub_f32_e32 v79, v85, v79
	v_fma_f32 v136, v135, v95, -v92
	v_sub_f32_e32 v135, v76, v103
	v_sub_f32_e32 v92, v86, v153
	;; [unrolled: 1-line block ×3, first 2 shown]
	v_fma_f32 v75, v85, 2.0, -v79
	v_sub_f32_e32 v85, v89, v102
	v_sub_f32_e32 v102, v72, v155
	;; [unrolled: 1-line block ×3, first 2 shown]
	v_fma_f32 v74, v84, 2.0, -v78
	v_sub_f32_e32 v84, v88, v152
	v_sub_f32_e32 v94, v90, v100
	;; [unrolled: 1-line block ×8, first 2 shown]
	v_fma_f32 v100, v72, 2.0, -v102
	v_fma_f32 v101, v73, 2.0, -v103
	;; [unrolled: 1-line block ×14, first 2 shown]
	s_barrier
	buffer_gl0_inv
	ds_write2_b64 v164, v[74:75], v[78:79] offset1:2
	ds_write2_b64 v163, v[86:87], v[92:93] offset1:2
	;; [unrolled: 1-line block ×7, first 2 shown]
	s_and_saveexec_b32 s1, vcc_lo
	s_cbranch_execz .LBB0_33
; %bb.32:
	v_and_or_b32 v72, 0x6fc, v147, v148
	v_lshlrev_b32_e32 v72, 3, v72
	ds_write2_b64 v72, v[100:101], v[102:103] offset1:2
.LBB0_33:
	s_or_b32 exec_lo, exec_lo, s1
	v_add_nc_u32_e32 v76, 0x1c00, v145
	v_add_nc_u32_e32 v72, 0x1400, v145
	;; [unrolled: 1-line block ×6, first 2 shown]
	s_waitcnt lgkmcnt(0)
	s_barrier
	buffer_gl0_inv
	ds_read2_b64 v[80:83], v145 offset1:112
	ds_read2_b64 v[72:75], v72 offset0:32 offset1:200
	ds_read2_b64 v[96:99], v76 offset0:56 offset1:168
	;; [unrolled: 1-line block ×6, first 2 shown]
	s_and_saveexec_b32 s1, vcc_lo
	s_cbranch_execz .LBB0_35
; %bb.34:
	ds_read_b64 v[100:101], v145 offset:6272
	ds_read_b64 v[102:103], v145 offset:12992
.LBB0_35:
	s_or_b32 exec_lo, exec_lo, s1
	s_waitcnt lgkmcnt(5)
	v_mul_f32_e32 v135, v140, v75
	v_mul_f32_e32 v136, v140, v74
	s_waitcnt lgkmcnt(4)
	v_mul_f32_e32 v148, v140, v97
	v_mul_f32_e32 v151, v140, v96
	s_waitcnt lgkmcnt(0)
	v_mul_f32_e32 v154, v140, v103
	v_fmac_f32_e32 v135, v139, v74
	v_fma_f32 v75, v139, v75, -v136
	v_mul_f32_e32 v136, v140, v99
	v_mul_f32_e32 v74, v140, v98
	v_fmac_f32_e32 v148, v139, v96
	v_mul_f32_e32 v96, v140, v93
	v_fma_f32 v97, v139, v97, -v151
	v_fmac_f32_e32 v136, v139, v98
	v_fma_f32 v98, v139, v99, -v74
	v_mul_f32_e32 v74, v140, v92
	v_mul_f32_e32 v151, v140, v89
	v_fmac_f32_e32 v96, v139, v92
	v_mul_f32_e32 v99, v140, v95
	v_mul_f32_e32 v92, v140, v94
	v_fma_f32 v93, v139, v93, -v74
	v_mul_f32_e32 v74, v140, v88
	v_fmac_f32_e32 v151, v139, v88
	v_mul_f32_e32 v152, v140, v91
	v_mul_f32_e32 v88, v140, v90
	v_fmac_f32_e32 v154, v139, v102
	v_fma_f32 v153, v139, v89, -v74
	v_mul_f32_e32 v89, v140, v102
	v_fmac_f32_e32 v99, v139, v94
	v_fma_f32 v95, v139, v95, -v92
	v_fmac_f32_e32 v152, v139, v90
	v_sub_f32_e32 v74, v80, v135
	v_fma_f32 v103, v139, v103, -v89
	v_fma_f32 v135, v139, v91, -v88
	v_sub_f32_e32 v75, v81, v75
	v_sub_f32_e32 v102, v100, v154
	;; [unrolled: 1-line block ×11, first 2 shown]
	v_fma_f32 v80, v80, 2.0, -v74
	v_fma_f32 v81, v81, 2.0, -v75
	v_sub_f32_e32 v96, v78, v151
	v_sub_f32_e32 v97, v79, v153
	v_sub_f32_e32 v98, v72, v152
	v_sub_f32_e32 v99, v73, v135
	v_fma_f32 v100, v100, 2.0, -v102
	v_fma_f32 v101, v101, 2.0, -v103
	;; [unrolled: 1-line block ×14, first 2 shown]
	s_barrier
	buffer_gl0_inv
	ds_write2_b64 v172, v[80:81], v[74:75] offset1:4
	ds_write2_b64 v170, v[82:83], v[88:89] offset1:4
	;; [unrolled: 1-line block ×7, first 2 shown]
	s_and_saveexec_b32 s1, vcc_lo
	s_cbranch_execz .LBB0_37
; %bb.36:
	v_and_or_b32 v72, 0x6f8, v147, v150
	v_lshlrev_b32_e32 v72, 3, v72
	ds_write2_b64 v72, v[100:101], v[102:103] offset1:4
.LBB0_37:
	s_or_b32 exec_lo, exec_lo, s1
	v_add_nc_u32_e32 v80, 0x1c00, v145
	v_add_nc_u32_e32 v72, 0x1400, v145
	;; [unrolled: 1-line block ×6, first 2 shown]
	s_waitcnt lgkmcnt(0)
	s_barrier
	buffer_gl0_inv
	ds_read2_b64 v[76:79], v145 offset1:112
	ds_read2_b64 v[72:75], v72 offset0:32 offset1:200
	ds_read2_b64 v[96:99], v80 offset0:56 offset1:168
	;; [unrolled: 1-line block ×6, first 2 shown]
	s_and_saveexec_b32 s1, vcc_lo
	s_cbranch_execz .LBB0_39
; %bb.38:
	ds_read_b64 v[100:101], v145 offset:6272
	ds_read_b64 v[102:103], v145 offset:12992
.LBB0_39:
	s_or_b32 exec_lo, exec_lo, s1
	s_waitcnt lgkmcnt(4)
	v_mul_f32_e32 v139, v142, v97
	v_mul_f32_e32 v148, v142, v99
	;; [unrolled: 1-line block ×5, first 2 shown]
	v_fmac_f32_e32 v139, v141, v96
	v_mul_f32_e32 v96, v142, v98
	v_fmac_f32_e32 v148, v141, v98
	s_waitcnt lgkmcnt(2)
	v_mul_f32_e32 v98, v142, v92
	v_fmac_f32_e32 v135, v141, v74
	v_fma_f32 v74, v141, v75, -v136
	v_fma_f32 v75, v141, v97, -v140
	v_mul_f32_e32 v97, v142, v93
	v_fma_f32 v98, v141, v93, -v98
	s_waitcnt lgkmcnt(0)
	v_mul_f32_e32 v93, v142, v90
	v_mul_f32_e32 v136, v142, v95
	v_fma_f32 v96, v141, v99, -v96
	v_mul_f32_e32 v99, v142, v94
	v_fmac_f32_e32 v97, v141, v92
	v_mul_f32_e32 v140, v142, v89
	v_mul_f32_e32 v92, v142, v88
	;; [unrolled: 1-line block ×4, first 2 shown]
	v_fma_f32 v153, v141, v91, -v93
	v_mul_f32_e32 v91, v142, v102
	v_fmac_f32_e32 v136, v141, v94
	v_fma_f32 v99, v141, v95, -v99
	v_fmac_f32_e32 v140, v141, v88
	v_fma_f32 v152, v141, v89, -v92
	v_fmac_f32_e32 v150, v141, v90
	v_fmac_f32_e32 v151, v141, v102
	v_sub_f32_e32 v88, v76, v135
	v_sub_f32_e32 v89, v77, v74
	v_fma_f32 v135, v141, v103, -v91
	v_sub_f32_e32 v90, v78, v139
	v_sub_f32_e32 v91, v79, v75
	;; [unrolled: 1-line block ×8, first 2 shown]
	v_fma_f32 v76, v76, 2.0, -v88
	v_fma_f32 v77, v77, 2.0, -v89
	v_sub_f32_e32 v98, v82, v140
	v_sub_f32_e32 v99, v83, v152
	;; [unrolled: 1-line block ×6, first 2 shown]
	v_fma_f32 v78, v78, 2.0, -v90
	v_fma_f32 v79, v79, 2.0, -v91
	;; [unrolled: 1-line block ×12, first 2 shown]
	s_barrier
	buffer_gl0_inv
	ds_write2_b64 v180, v[76:77], v[88:89] offset1:8
	ds_write2_b64 v179, v[78:79], v[90:91] offset1:8
	;; [unrolled: 1-line block ×7, first 2 shown]
	s_and_saveexec_b32 s1, vcc_lo
	s_cbranch_execz .LBB0_41
; %bb.40:
	v_and_or_b32 v76, 0x6f0, v147, v157
	v_fma_f32 v73, v101, 2.0, -v75
	v_fma_f32 v72, v100, 2.0, -v74
	v_lshlrev_b32_e32 v76, 3, v76
	ds_write2_b64 v76, v[72:73], v[74:75] offset1:8
.LBB0_41:
	s_or_b32 exec_lo, exec_lo, s1
	v_add_nc_u32_e32 v135, 0xc00, v145
	v_add_nc_u32_e32 v72, 0x2000, v145
	;; [unrolled: 1-line block ×3, first 2 shown]
	s_waitcnt lgkmcnt(0)
	s_barrier
	buffer_gl0_inv
	ds_read2_b64 v[76:79], v135 offset0:64 offset1:176
	ds_read2_b64 v[80:83], v72 offset0:96 offset1:208
	;; [unrolled: 1-line block ×3, first 2 shown]
	v_add_nc_u32_e32 v139, 0x400, v145
	v_add_nc_u32_e32 v96, 0x2800, v145
	;; [unrolled: 1-line block ×3, first 2 shown]
	ds_read2_b64 v[88:91], v145 offset1:112
	ds_read_b64 v[72:73], v145 offset:12544
	ds_read2_b64 v[92:95], v139 offset0:96 offset1:208
	ds_read2_b64 v[96:99], v96 offset0:64 offset1:176
	;; [unrolled: 1-line block ×3, first 2 shown]
	s_waitcnt lgkmcnt(0)
	s_barrier
	buffer_gl0_inv
	v_mul_f32_e32 v140, v13, v79
	v_mul_f32_e32 v141, v13, v78
	v_mul_f32_e32 v142, v15, v81
	v_mul_f32_e32 v147, v15, v80
	v_mul_f32_e32 v150, v13, v84
	v_mul_f32_e32 v151, v15, v83
	v_mul_f32_e32 v152, v15, v82
	v_mul_f32_e32 v148, v13, v85
	v_fmac_f32_e32 v140, v12, v78
	v_fma_f32 v78, v12, v79, -v141
	v_fmac_f32_e32 v142, v14, v80
	v_fma_f32 v79, v14, v81, -v147
	v_fma_f32 v80, v12, v85, -v150
	v_mul_f32_e32 v85, v13, v87
	v_fmac_f32_e32 v151, v14, v82
	v_mul_f32_e32 v81, v13, v86
	v_fma_f32 v82, v14, v83, -v152
	v_mul_f32_e32 v141, v15, v97
	v_mul_f32_e32 v83, v15, v96
	v_fmac_f32_e32 v85, v12, v86
	v_fma_f32 v86, v12, v87, -v81
	v_mul_f32_e32 v147, v13, v101
	v_fmac_f32_e32 v141, v14, v96
	v_fma_f32 v87, v14, v97, -v83
	v_mul_f32_e32 v96, v15, v99
	v_mul_f32_e32 v83, v15, v98
	v_mul_f32_e32 v81, v13, v100
	v_fmac_f32_e32 v147, v12, v100
	v_mul_f32_e32 v100, v13, v103
	v_fmac_f32_e32 v96, v14, v98
	v_mul_f32_e32 v13, v13, v102
	v_fma_f32 v98, v14, v99, -v83
	v_mul_f32_e32 v99, v15, v73
	v_mul_f32_e32 v15, v15, v72
	v_fmac_f32_e32 v148, v12, v84
	v_fma_f32 v97, v12, v101, -v81
	v_fmac_f32_e32 v100, v12, v102
	v_fma_f32 v101, v12, v103, -v13
	v_add_f32_e32 v13, v88, v140
	v_fma_f32 v102, v14, v73, -v15
	v_add_f32_e32 v15, v78, v79
	v_sub_f32_e32 v73, v78, v79
	v_add_f32_e32 v78, v89, v78
	v_add_f32_e32 v12, v140, v142
	v_fmac_f32_e32 v99, v14, v72
	v_add_f32_e32 v14, v13, v142
	v_fma_f32 v13, -0.5, v15, v89
	v_add_f32_e32 v15, v78, v79
	v_add_f32_e32 v78, v148, v151
	;; [unrolled: 1-line block ×3, first 2 shown]
	v_fma_f32 v12, -0.5, v12, v88
	v_sub_f32_e32 v81, v140, v142
	v_sub_f32_e32 v83, v80, v82
	v_fma_f32 v90, -0.5, v78, v90
	v_add_f32_e32 v78, v79, v151
	v_add_f32_e32 v79, v91, v80
	v_fmamk_f32 v72, v73, 0xbf5db3d7, v12
	v_fmac_f32_e32 v12, 0x3f5db3d7, v73
	v_fmamk_f32 v73, v81, 0x3f5db3d7, v13
	v_fmac_f32_e32 v13, 0xbf5db3d7, v81
	v_add_f32_e32 v81, v80, v82
	v_add_f32_e32 v79, v79, v82
	;; [unrolled: 1-line block ×3, first 2 shown]
	v_sub_f32_e32 v84, v148, v151
	v_fmamk_f32 v80, v83, 0xbf5db3d7, v90
	v_fmac_f32_e32 v91, -0.5, v81
	v_fmac_f32_e32 v90, 0x3f5db3d7, v83
	v_add_f32_e32 v83, v92, v85
	v_add_f32_e32 v88, v86, v87
	v_fma_f32 v82, -0.5, v82, v92
	v_sub_f32_e32 v89, v86, v87
	v_add_f32_e32 v92, v93, v86
	v_fmamk_f32 v81, v84, 0x3f5db3d7, v91
	v_fmac_f32_e32 v91, 0xbf5db3d7, v84
	v_add_f32_e32 v84, v83, v141
	v_fma_f32 v83, -0.5, v88, v93
	v_sub_f32_e32 v88, v85, v141
	v_fmamk_f32 v86, v89, 0xbf5db3d7, v82
	v_fmac_f32_e32 v82, 0x3f5db3d7, v89
	v_add_f32_e32 v85, v92, v87
	v_add_f32_e32 v89, v147, v96
	;; [unrolled: 1-line block ×4, first 2 shown]
	v_fmamk_f32 v87, v88, 0x3f5db3d7, v83
	v_fmac_f32_e32 v83, 0xbf5db3d7, v88
	v_fma_f32 v94, -0.5, v89, v94
	v_sub_f32_e32 v89, v97, v98
	v_add_f32_e32 v88, v92, v96
	v_add_f32_e32 v97, v95, v97
	v_fmac_f32_e32 v95, -0.5, v93
	v_sub_f32_e32 v96, v147, v96
	v_fmamk_f32 v92, v89, 0xbf5db3d7, v94
	v_fmac_f32_e32 v94, 0x3f5db3d7, v89
	v_add_f32_e32 v89, v97, v98
	v_add_f32_e32 v97, v100, v99
	v_fmamk_f32 v93, v96, 0x3f5db3d7, v95
	v_fmac_f32_e32 v95, 0xbf5db3d7, v96
	v_add_f32_e32 v96, v101, v102
	v_add_f32_e32 v98, v76, v100
	v_fma_f32 v76, -0.5, v97, v76
	v_sub_f32_e32 v97, v101, v102
	v_add_f32_e32 v101, v77, v101
	v_fmac_f32_e32 v77, -0.5, v96
	v_sub_f32_e32 v100, v100, v99
	v_add_f32_e32 v96, v98, v99
	v_fmamk_f32 v98, v97, 0xbf5db3d7, v76
	v_fmac_f32_e32 v76, 0x3f5db3d7, v97
	v_add_f32_e32 v97, v101, v102
	v_fmamk_f32 v99, v100, 0x3f5db3d7, v77
	v_fmac_f32_e32 v77, 0xbf5db3d7, v100
	ds_write2_b64 v185, v[14:15], v[72:73] offset1:16
	ds_write_b64 v185, v[12:13] offset:256
	ds_write2_b64 v184, v[78:79], v[80:81] offset1:16
	ds_write_b64 v184, v[90:91] offset:256
	;; [unrolled: 2-line block ×5, first 2 shown]
	v_add_nc_u32_e32 v72, 0x1c00, v145
	v_add_nc_u32_e32 v73, 0x2400, v145
	;; [unrolled: 1-line block ×3, first 2 shown]
	s_waitcnt lgkmcnt(0)
	s_barrier
	buffer_gl0_inv
	ds_read2_b64 v[12:15], v145 offset1:112
	ds_read2_b64 v[90:93], v139 offset0:112 offset1:224
	ds_read2_b64 v[98:101], v135 offset0:96 offset1:208
	;; [unrolled: 1-line block ×6, first 2 shown]
	s_and_saveexec_b32 s1, s0
	s_cbranch_execz .LBB0_43
; %bb.42:
	v_add_nc_u32_e32 v64, 0x700, v145
	v_add_nc_u32_e32 v65, 0x1600, v145
	;; [unrolled: 1-line block ×3, first 2 shown]
	ds_read2_b64 v[72:75], v64 offset1:240
	ds_read_b64 v[143:144], v145 offset:13312
	ds_read2_b64 v[64:67], v65 offset1:240
	ds_read2_b64 v[68:71], v68 offset1:240
	s_waitcnt lgkmcnt(3)
	v_mov_b32_e32 v76, v72
	v_mov_b32_e32 v77, v73
.LBB0_43:
	s_or_b32 exec_lo, exec_lo, s1
	s_waitcnt lgkmcnt(5)
	v_mul_f32_e32 v72, v37, v91
	v_mul_f32_e32 v37, v37, v90
	s_waitcnt lgkmcnt(4)
	v_mul_f32_e32 v73, v39, v99
	v_mul_f32_e32 v39, v39, v98
	s_waitcnt lgkmcnt(0)
	v_fmac_f32_e32 v72, v36, v90
	v_fma_f32 v36, v36, v91, -v37
	v_fmac_f32_e32 v73, v38, v98
	v_fma_f32 v37, v38, v99, -v39
	v_mul_f32_e32 v38, v33, v95
	v_mul_f32_e32 v33, v33, v94
	;; [unrolled: 1-line block ×5, first 2 shown]
	v_fmac_f32_e32 v38, v32, v94
	v_fma_f32 v32, v32, v95, -v33
	v_fmac_f32_e32 v39, v34, v86
	v_fma_f32 v33, v34, v87, -v35
	v_mul_f32_e32 v34, v31, v79
	v_mul_f32_e32 v29, v29, v82
	v_mul_f32_e32 v31, v31, v78
	v_fmac_f32_e32 v90, v28, v82
	v_mul_f32_e32 v35, v25, v93
	v_fmac_f32_e32 v34, v30, v78
	v_mul_f32_e32 v78, v21, v97
	v_mul_f32_e32 v21, v21, v96
	;; [unrolled: 1-line block ×3, first 2 shown]
	v_fma_f32 v28, v28, v83, -v29
	v_fma_f32 v29, v30, v79, -v31
	v_mul_f32_e32 v79, v23, v89
	v_fmac_f32_e32 v78, v20, v96
	v_fma_f32 v83, v20, v97, -v21
	v_mul_f32_e32 v20, v23, v88
	v_mul_f32_e32 v86, v17, v85
	;; [unrolled: 1-line block ×3, first 2 shown]
	v_fmac_f32_e32 v35, v24, v92
	v_fma_f32 v30, v24, v93, -v25
	v_mul_f32_e32 v31, v27, v101
	v_mul_f32_e32 v24, v27, v100
	v_fmac_f32_e32 v79, v22, v88
	v_mul_f32_e32 v87, v19, v81
	v_mul_f32_e32 v19, v19, v80
	v_fma_f32 v88, v22, v89, -v20
	v_fmac_f32_e32 v86, v16, v84
	v_fma_f32 v84, v16, v85, -v17
	v_add_f32_e32 v16, v72, v34
	v_add_f32_e32 v17, v36, v29
	v_add_f32_e32 v20, v73, v90
	v_add_f32_e32 v21, v37, v28
	v_fmac_f32_e32 v31, v26, v100
	v_fma_f32 v82, v26, v101, -v24
	v_fmac_f32_e32 v87, v18, v80
	v_fma_f32 v80, v18, v81, -v19
	v_sub_f32_e32 v18, v72, v34
	v_sub_f32_e32 v19, v36, v29
	v_sub_f32_e32 v22, v73, v90
	v_sub_f32_e32 v23, v37, v28
	v_add_f32_e32 v24, v38, v39
	v_add_f32_e32 v25, v32, v33
	v_sub_f32_e32 v26, v39, v38
	v_sub_f32_e32 v27, v33, v32
	v_add_f32_e32 v28, v20, v16
	v_add_f32_e32 v29, v21, v17
	v_sub_f32_e32 v32, v20, v16
	v_sub_f32_e32 v33, v21, v17
	;; [unrolled: 1-line block ×6, first 2 shown]
	v_add_f32_e32 v34, v26, v22
	v_add_f32_e32 v36, v27, v23
	v_sub_f32_e32 v37, v26, v22
	v_sub_f32_e32 v38, v27, v23
	;; [unrolled: 1-line block ×3, first 2 shown]
	v_add_f32_e32 v24, v24, v28
	v_add_f32_e32 v25, v25, v29
	v_sub_f32_e32 v26, v18, v26
	v_sub_f32_e32 v27, v19, v27
	;; [unrolled: 1-line block ×3, first 2 shown]
	v_add_f32_e32 v18, v34, v18
	v_add_f32_e32 v19, v36, v19
	;; [unrolled: 1-line block ×4, first 2 shown]
	v_mul_f32_e32 v16, 0x3f4a47b2, v16
	v_mul_f32_e32 v17, 0x3f4a47b2, v17
	;; [unrolled: 1-line block ×8, first 2 shown]
	v_fmamk_f32 v24, v24, 0xbf955555, v12
	v_fmamk_f32 v25, v25, 0xbf955555, v13
	;; [unrolled: 1-line block ×4, first 2 shown]
	v_fma_f32 v28, 0x3f3bfb3b, v32, -v28
	v_fma_f32 v29, 0x3f3bfb3b, v33, -v29
	;; [unrolled: 1-line block ×4, first 2 shown]
	v_fmamk_f32 v32, v26, 0xbeae86e6, v34
	v_fmamk_f32 v33, v27, 0xbeae86e6, v36
	v_fma_f32 v34, 0xbf5ff5aa, v22, -v34
	v_fma_f32 v22, 0xbf5ff5aa, v23, -v36
	;; [unrolled: 1-line block ×4, first 2 shown]
	v_add_f32_e32 v36, v20, v24
	v_add_f32_e32 v37, v21, v25
	;; [unrolled: 1-line block ×5, first 2 shown]
	v_fmac_f32_e32 v33, 0xbee1c552, v19
	v_fmac_f32_e32 v34, 0xbee1c552, v18
	;; [unrolled: 1-line block ×4, first 2 shown]
	v_add_f32_e32 v24, v16, v24
	v_fmac_f32_e32 v32, 0xbee1c552, v18
	v_fmac_f32_e32 v27, 0xbee1c552, v19
	v_add_f32_e32 v16, v33, v36
	v_sub_f32_e32 v19, v25, v26
	v_sub_f32_e32 v20, v23, v22
	v_add_f32_e32 v21, v34, v28
	v_add_f32_e32 v22, v22, v23
	v_sub_f32_e32 v23, v28, v34
	v_add_f32_e32 v25, v26, v25
	v_sub_f32_e32 v26, v36, v33
	v_add_f32_e32 v28, v35, v87
	v_add_f32_e32 v29, v30, v80
	;; [unrolled: 1-line block ×4, first 2 shown]
	v_sub_f32_e32 v17, v37, v32
	v_add_f32_e32 v18, v27, v24
	v_sub_f32_e32 v24, v24, v27
	v_add_f32_e32 v27, v32, v37
	v_sub_f32_e32 v32, v35, v87
	v_sub_f32_e32 v31, v31, v86
	;; [unrolled: 1-line block ×3, first 2 shown]
	v_add_f32_e32 v36, v78, v79
	v_add_f32_e32 v37, v83, v88
	v_sub_f32_e32 v38, v79, v78
	v_sub_f32_e32 v39, v88, v83
	v_add_f32_e32 v72, v33, v28
	v_add_f32_e32 v73, v34, v29
	v_sub_f32_e32 v30, v30, v80
	v_sub_f32_e32 v78, v33, v28
	;; [unrolled: 1-line block ×7, first 2 shown]
	v_add_f32_e32 v80, v38, v31
	v_add_f32_e32 v81, v39, v35
	v_sub_f32_e32 v82, v38, v31
	v_sub_f32_e32 v83, v39, v35
	v_add_f32_e32 v36, v36, v72
	v_add_f32_e32 v37, v37, v73
	v_sub_f32_e32 v31, v31, v32
	v_sub_f32_e32 v35, v35, v30
	;; [unrolled: 1-line block ×4, first 2 shown]
	v_add_f32_e32 v32, v80, v32
	v_add_f32_e32 v30, v81, v30
	;; [unrolled: 1-line block ×4, first 2 shown]
	v_mul_f32_e32 v28, 0x3f4a47b2, v28
	v_mul_f32_e32 v29, 0x3f4a47b2, v29
	;; [unrolled: 1-line block ×8, first 2 shown]
	v_fmamk_f32 v36, v36, 0xbf955555, v14
	v_fmamk_f32 v37, v37, 0xbf955555, v15
	;; [unrolled: 1-line block ×4, first 2 shown]
	v_fma_f32 v72, 0x3f3bfb3b, v78, -v72
	v_fma_f32 v73, 0x3f3bfb3b, v79, -v73
	;; [unrolled: 1-line block ×4, first 2 shown]
	v_fmamk_f32 v78, v38, 0xbeae86e6, v80
	v_fmamk_f32 v79, v39, 0xbeae86e6, v81
	v_fma_f32 v80, 0xbf5ff5aa, v31, -v80
	v_fma_f32 v35, 0xbf5ff5aa, v35, -v81
	;; [unrolled: 1-line block ×4, first 2 shown]
	v_add_f32_e32 v81, v33, v36
	v_add_f32_e32 v82, v34, v37
	v_fmac_f32_e32 v78, 0xbee1c552, v32
	v_fmac_f32_e32 v79, 0xbee1c552, v30
	v_add_f32_e32 v34, v72, v36
	v_add_f32_e32 v72, v73, v37
	;; [unrolled: 1-line block ×4, first 2 shown]
	v_fmac_f32_e32 v80, 0xbee1c552, v32
	v_fmac_f32_e32 v39, 0xbee1c552, v30
	;; [unrolled: 1-line block ×4, first 2 shown]
	v_add_f32_e32 v28, v79, v81
	v_sub_f32_e32 v29, v82, v78
	v_add_f32_e32 v30, v39, v36
	v_sub_f32_e32 v31, v37, v38
	v_sub_f32_e32 v32, v34, v35
	v_add_f32_e32 v33, v80, v72
	v_add_f32_e32 v34, v35, v34
	v_sub_f32_e32 v35, v72, v80
	v_sub_f32_e32 v36, v36, v39
	v_add_f32_e32 v37, v38, v37
	v_sub_f32_e32 v38, v81, v79
	v_add_f32_e32 v39, v78, v82
	s_barrier
	buffer_gl0_inv
	ds_write2_b64 v187, v[12:13], v[16:17] offset1:48
	ds_write2_b64 v187, v[18:19], v[20:21] offset0:96 offset1:144
	ds_write2_b64 v187, v[22:23], v[24:25] offset0:192 offset1:240
	ds_write_b64 v187, v[26:27] offset:2304
	ds_write2_b64 v186, v[14:15], v[28:29] offset1:48
	ds_write2_b64 v186, v[30:31], v[32:33] offset0:96 offset1:144
	ds_write2_b64 v186, v[34:35], v[36:37] offset0:192 offset1:240
	ds_write_b64 v186, v[38:39] offset:2304
	s_and_saveexec_b32 s1, s0
	s_cbranch_execz .LBB0_45
; %bb.44:
	v_mul_f32_e32 v12, v5, v75
	v_mul_f32_e32 v15, v7, v65
	;; [unrolled: 1-line block ×10, first 2 shown]
	v_fmac_f32_e32 v15, v6, v64
	v_fmac_f32_e32 v12, v4, v74
	;; [unrolled: 1-line block ×3, first 2 shown]
	v_fma_f32 v10, v10, v144, -v11
	v_fma_f32 v4, v4, v75, -v5
	v_mul_f32_e32 v1, v1, v66
	v_mul_f32_e32 v3, v3, v68
	v_fma_f32 v5, v8, v71, -v9
	v_fma_f32 v6, v6, v65, -v7
	v_fmac_f32_e32 v13, v2, v68
	v_fmac_f32_e32 v14, v0, v66
	;; [unrolled: 1-line block ×3, first 2 shown]
	v_add_f32_e32 v8, v10, v4
	v_fma_f32 v0, v0, v67, -v1
	v_fma_f32 v2, v2, v69, -v3
	v_add_f32_e32 v9, v5, v6
	v_sub_f32_e32 v19, v15, v16
	v_sub_f32_e32 v20, v12, v17
	v_add_f32_e32 v12, v17, v12
	v_add_f32_e32 v1, v0, v2
	;; [unrolled: 1-line block ×4, first 2 shown]
	v_sub_f32_e32 v18, v13, v14
	v_add_f32_e32 v13, v14, v13
	v_sub_f32_e32 v22, v8, v1
	v_add_f32_e32 v3, v1, v3
	;; [unrolled: 2-line block ×3, first 2 shown]
	v_sub_f32_e32 v2, v2, v0
	v_sub_f32_e32 v5, v6, v5
	v_add_f32_e32 v1, v77, v3
	v_sub_f32_e32 v4, v4, v10
	v_mul_f32_e32 v17, 0x3f4a47b2, v22
	v_sub_f32_e32 v23, v12, v13
	v_sub_f32_e32 v21, v18, v19
	v_fmamk_f32 v24, v3, 0xbf955555, v1
	v_add_f32_e32 v3, v13, v14
	v_sub_f32_e32 v10, v2, v5
	v_sub_f32_e32 v25, v4, v2
	v_add_f32_e32 v2, v2, v5
	v_sub_f32_e32 v5, v5, v4
	v_add_f32_e32 v7, v18, v19
	v_mul_f32_e32 v22, 0x3d64c772, v16
	v_fmamk_f32 v16, v16, 0x3d64c772, v17
	v_mul_f32_e32 v6, 0x3f4a47b2, v23
	v_sub_f32_e32 v13, v13, v15
	v_sub_f32_e32 v19, v19, v20
	;; [unrolled: 1-line block ×4, first 2 shown]
	v_mul_f32_e32 v21, 0x3f08b237, v21
	v_add_f32_e32 v0, v76, v3
	v_mul_f32_e32 v10, 0x3f08b237, v10
	v_sub_f32_e32 v9, v15, v12
	v_mul_f32_e32 v12, 0xbf5ff5aa, v5
	v_add_f32_e32 v14, v16, v24
	v_fmamk_f32 v16, v13, 0x3d64c772, v6
	v_mul_f32_e32 v13, 0x3d64c772, v13
	v_mul_f32_e32 v26, 0xbf5ff5aa, v19
	v_add_f32_e32 v2, v2, v4
	v_fma_f32 v4, 0xbf3bfb3b, v8, -v17
	v_fmamk_f32 v18, v11, 0xbeae86e6, v21
	v_add_f32_e32 v7, v7, v20
	v_fmamk_f32 v23, v3, 0xbf955555, v0
	v_fmamk_f32 v20, v25, 0xbeae86e6, v10
	v_fma_f32 v25, 0x3eae86e6, v25, -v12
	v_mov_b32_e32 v12, 3
	v_fma_f32 v11, 0x3eae86e6, v11, -v26
	v_fma_f32 v6, 0xbf3bfb3b, v9, -v6
	v_add_f32_e32 v15, v4, v24
	v_fma_f32 v4, 0x3f3bfb3b, v8, -v22
	v_fma_f32 v8, 0xbf5ff5aa, v19, -v21
	;; [unrolled: 1-line block ×4, first 2 shown]
	v_fmac_f32_e32 v18, 0xbee1c552, v7
	v_add_f32_e32 v16, v16, v23
	v_fmac_f32_e32 v20, 0xbee1c552, v2
	v_lshlrev_b32_sdwa v19, v12, v149 dst_sel:DWORD dst_unused:UNUSED_PAD src0_sel:DWORD src1_sel:WORD_0
	v_fmac_f32_e32 v11, 0xbee1c552, v7
	v_add_f32_e32 v17, v6, v23
	v_fmac_f32_e32 v25, 0xbee1c552, v2
	v_add_f32_e32 v9, v4, v24
	v_fmac_f32_e32 v8, 0xbee1c552, v7
	v_fmac_f32_e32 v10, 0xbee1c552, v2
	v_add_f32_e32 v2, v5, v23
	v_add_f32_e32 v3, v18, v14
	v_sub_f32_e32 v13, v14, v18
	v_add_f32_e32 v12, v20, v16
	v_add_nc_u32_e32 v14, 0x2800, v19
	v_add_f32_e32 v5, v11, v15
	v_sub_f32_e32 v7, v9, v8
	v_add_f32_e32 v6, v10, v2
	v_add_f32_e32 v9, v8, v9
	v_sub_f32_e32 v8, v2, v10
	v_sub_f32_e32 v11, v15, v11
	v_add_f32_e32 v10, v25, v17
	v_sub_f32_e32 v4, v17, v25
	v_add_nc_u32_e32 v15, 0x3000, v19
	v_sub_f32_e32 v2, v16, v20
	ds_write2_b64 v14, v[0:1], v[12:13] offset0:64 offset1:112
	ds_write2_b64 v14, v[10:11], v[8:9] offset0:160 offset1:208
	ds_write2_b64 v15, v[6:7], v[4:5] offset1:48
	ds_write_b64 v19, v[2:3] offset:13056
.LBB0_45:
	s_or_b32 exec_lo, exec_lo, s1
	v_add_nc_u32_e32 v2, 0x400, v145
	v_add_nc_u32_e32 v3, 0x1400, v145
	;; [unrolled: 1-line block ×5, first 2 shown]
	s_waitcnt lgkmcnt(0)
	s_barrier
	buffer_gl0_inv
	ds_read2_b64 v[4:7], v2 offset0:96 offset1:208
	ds_read2_b64 v[8:11], v3 offset0:32 offset1:144
	;; [unrolled: 1-line block ×5, first 2 shown]
	v_add_nc_u32_e32 v28, 0x2000, v145
	ds_read2_b64 v[24:27], v145 offset1:112
	ds_read_b64 v[32:33], v145 offset:12544
	ds_read2_b64 v[28:31], v28 offset0:96 offset1:208
	s_mov_b32 s2, 0x13813814
	s_mov_b32 s3, 0x3f438138
	s_mul_hi_u32 s1, s8, 0x348
	s_waitcnt lgkmcnt(5)
	v_mul_f32_e32 v38, v45, v15
	v_mul_f32_e32 v34, v49, v7
	;; [unrolled: 1-line block ×4, first 2 shown]
	s_waitcnt lgkmcnt(4)
	v_mul_f32_e32 v45, v47, v17
	v_mul_f32_e32 v47, v47, v16
	;; [unrolled: 1-line block ×3, first 2 shown]
	v_fmac_f32_e32 v34, v48, v6
	v_fma_f32 v35, v48, v7, -v35
	s_waitcnt lgkmcnt(3)
	v_mul_f32_e32 v6, v61, v20
	v_fmac_f32_e32 v45, v46, v16
	v_fma_f32 v16, v46, v17, -v47
	s_waitcnt lgkmcnt(0)
	v_mul_f32_e32 v46, v53, v29
	v_mul_f32_e32 v7, v53, v28
	;; [unrolled: 1-line block ×3, first 2 shown]
	v_fmac_f32_e32 v36, v50, v8
	v_fmac_f32_e32 v38, v44, v14
	v_fma_f32 v39, v44, v15, -v39
	v_fma_f32 v44, v60, v21, -v6
	v_mul_f32_e32 v6, v63, v10
	v_fmac_f32_e32 v46, v52, v28
	v_fma_f32 v28, v52, v29, -v7
	v_mul_f32_e32 v7, v57, v22
	v_mul_f32_e32 v8, v59, v12
	v_mul_f32_e32 v47, v55, v19
	v_fma_f32 v48, v62, v11, -v6
	v_mul_f32_e32 v6, v55, v18
	v_fma_f32 v52, v56, v23, -v7
	v_fma_f32 v53, v58, v13, -v8
	v_mul_f32_e32 v7, v41, v30
	v_add_f32_e32 v8, v24, v34
	v_mul_f32_e32 v49, v61, v21
	v_fma_f32 v37, v50, v9, -v37
	v_mul_f32_e32 v21, v63, v11
	v_fmac_f32_e32 v47, v54, v18
	v_mul_f32_e32 v50, v59, v13
	v_fma_f32 v51, v54, v19, -v6
	v_add_f32_e32 v6, v36, v38
	v_mul_f32_e32 v54, v41, v31
	v_fma_f32 v31, v40, v31, -v7
	v_add_f32_e32 v7, v8, v36
	v_fmac_f32_e32 v21, v62, v10
	v_fmac_f32_e32 v50, v58, v12
	v_fma_f32 v6, -0.5, v6, v24
	v_sub_f32_e32 v9, v35, v16
	v_sub_f32_e32 v10, v34, v36
	;; [unrolled: 1-line block ×3, first 2 shown]
	v_add_f32_e32 v13, v34, v45
	v_add_f32_e32 v7, v7, v38
	v_fmamk_f32 v8, v9, 0xbf737871, v6
	v_sub_f32_e32 v11, v37, v39
	v_mul_f32_e32 v14, v43, v32
	v_add_f32_e32 v15, v10, v12
	v_fma_f32 v10, -0.5, v13, v24
	v_add_f32_e32 v12, v7, v45
	v_fmac_f32_e32 v6, 0x3f737871, v9
	v_sub_f32_e32 v7, v36, v34
	v_sub_f32_e32 v13, v38, v45
	v_add_f32_e32 v17, v25, v35
	v_add_f32_e32 v18, v37, v39
	v_fmac_f32_e32 v54, v40, v30
	v_fmac_f32_e32 v8, 0xbf167918, v11
	v_fma_f32 v40, v42, v33, -v14
	v_fmamk_f32 v14, v11, 0x3f737871, v10
	v_fmac_f32_e32 v6, 0x3f167918, v11
	v_add_f32_e32 v13, v7, v13
	v_fmac_f32_e32 v10, 0xbf737871, v11
	v_add_f32_e32 v11, v17, v37
	v_fma_f32 v7, -0.5, v18, v25
	v_sub_f32_e32 v17, v34, v45
	v_fmac_f32_e32 v49, v60, v20
	v_fmac_f32_e32 v8, 0x3e9e377a, v15
	;; [unrolled: 1-line block ×5, first 2 shown]
	v_add_f32_e32 v15, v11, v39
	v_fmamk_f32 v9, v17, 0x3f737871, v7
	v_add_f32_e32 v11, v35, v16
	v_sub_f32_e32 v18, v36, v38
	v_sub_f32_e32 v19, v35, v37
	v_sub_f32_e32 v20, v16, v39
	v_fmac_f32_e32 v7, 0xbf737871, v17
	v_mul_f32_e32 v29, v57, v23
	v_fma_f32 v11, -0.5, v11, v25
	v_fmac_f32_e32 v9, 0x3f167918, v18
	v_add_f32_e32 v19, v19, v20
	v_fmac_f32_e32 v7, 0xbf167918, v18
	v_add_f32_e32 v23, v26, v49
	v_fmac_f32_e32 v29, v56, v22
	v_fmac_f32_e32 v14, 0x3e9e377a, v13
	;; [unrolled: 1-line block ×3, first 2 shown]
	v_add_f32_e32 v13, v15, v16
	v_fmamk_f32 v15, v18, 0xbf737871, v11
	v_sub_f32_e32 v20, v37, v35
	v_sub_f32_e32 v16, v39, v16
	v_fmac_f32_e32 v9, 0x3e9e377a, v19
	v_add_f32_e32 v22, v21, v46
	v_fmac_f32_e32 v7, 0x3e9e377a, v19
	v_fmac_f32_e32 v11, 0x3f737871, v18
	v_add_f32_e32 v19, v23, v21
	v_add_f32_e32 v30, v49, v47
	v_mul_f32_e32 v41, v43, v33
	v_fmac_f32_e32 v15, 0x3f167918, v17
	v_add_f32_e32 v20, v20, v16
	v_fma_f32 v16, -0.5, v22, v26
	v_sub_f32_e32 v24, v44, v51
	v_sub_f32_e32 v23, v48, v28
	;; [unrolled: 1-line block ×4, first 2 shown]
	v_fmac_f32_e32 v11, 0xbf167918, v17
	v_add_f32_e32 v17, v19, v46
	v_fma_f32 v26, -0.5, v30, v26
	v_fmac_f32_e32 v41, v42, v32
	v_fmac_f32_e32 v15, 0x3e9e377a, v20
	v_fmamk_f32 v18, v24, 0xbf737871, v16
	v_add_f32_e32 v19, v22, v25
	v_fmac_f32_e32 v11, 0x3e9e377a, v20
	v_add_f32_e32 v20, v17, v47
	v_fmac_f32_e32 v16, 0x3f737871, v24
	v_fmamk_f32 v22, v23, 0x3f737871, v26
	v_sub_f32_e32 v17, v21, v49
	v_sub_f32_e32 v25, v46, v47
	v_add_f32_e32 v30, v27, v44
	v_add_f32_e32 v32, v48, v28
	v_fmac_f32_e32 v26, 0xbf737871, v23
	v_fmac_f32_e32 v18, 0xbf167918, v23
	;; [unrolled: 1-line block ×4, first 2 shown]
	v_add_f32_e32 v25, v17, v25
	v_add_f32_e32 v23, v30, v48
	v_fma_f32 v17, -0.5, v32, v27
	v_sub_f32_e32 v30, v49, v47
	v_fmac_f32_e32 v26, 0x3f167918, v24
	v_add_f32_e32 v24, v44, v51
	v_sub_f32_e32 v33, v44, v48
	v_sub_f32_e32 v34, v51, v28
	v_fmac_f32_e32 v18, 0x3e9e377a, v19
	v_fmac_f32_e32 v16, 0x3e9e377a, v19
	;; [unrolled: 1-line block ×3, first 2 shown]
	v_add_f32_e32 v23, v23, v28
	v_fmamk_f32 v19, v30, 0x3f737871, v17
	v_sub_f32_e32 v32, v21, v46
	v_fmac_f32_e32 v26, 0x3e9e377a, v25
	v_fmac_f32_e32 v27, -0.5, v24
	v_add_f32_e32 v25, v33, v34
	v_fmac_f32_e32 v17, 0xbf737871, v30
	v_sub_f32_e32 v24, v48, v44
	v_sub_f32_e32 v28, v28, v51
	v_add_f32_e32 v33, v50, v54
	v_add_f32_e32 v21, v23, v51
	v_fmac_f32_e32 v19, 0x3f167918, v32
	v_fmamk_f32 v23, v32, 0xbf737871, v27
	v_fmac_f32_e32 v17, 0xbf167918, v32
	v_add_f32_e32 v34, v24, v28
	v_fmac_f32_e32 v27, 0x3f737871, v32
	v_add_f32_e32 v28, v4, v29
	v_fma_f32 v24, -0.5, v33, v4
	v_sub_f32_e32 v33, v52, v40
	v_fmac_f32_e32 v19, 0x3e9e377a, v25
	v_fmac_f32_e32 v23, 0x3f167918, v30
	;; [unrolled: 1-line block ×4, first 2 shown]
	v_add_f32_e32 v25, v28, v50
	v_fmamk_f32 v28, v33, 0xbf737871, v24
	v_sub_f32_e32 v35, v53, v31
	v_sub_f32_e32 v30, v29, v50
	v_sub_f32_e32 v32, v41, v54
	v_fmac_f32_e32 v24, 0x3f737871, v33
	v_add_f32_e32 v36, v29, v41
	v_fmac_f32_e32 v28, 0xbf167918, v35
	v_add_f32_e32 v25, v25, v54
	v_add_f32_e32 v32, v30, v32
	v_fmac_f32_e32 v24, 0x3f167918, v35
	v_fma_f32 v4, -0.5, v36, v4
	v_fmac_f32_e32 v23, 0x3e9e377a, v34
	v_fmac_f32_e32 v27, 0x3e9e377a, v34
	;; [unrolled: 1-line block ×4, first 2 shown]
	v_fmamk_f32 v32, v35, 0x3f737871, v4
	v_fmac_f32_e32 v4, 0xbf737871, v35
	v_add_f32_e32 v35, v5, v52
	v_add_f32_e32 v30, v25, v41
	;; [unrolled: 1-line block ×3, first 2 shown]
	v_sub_f32_e32 v34, v50, v29
	v_sub_f32_e32 v36, v54, v41
	v_fmac_f32_e32 v32, 0xbf167918, v33
	v_fmac_f32_e32 v4, 0x3f167918, v33
	v_add_f32_e32 v33, v35, v53
	v_add_f32_e32 v35, v52, v40
	v_fma_f32 v25, -0.5, v25, v5
	v_sub_f32_e32 v37, v29, v41
	v_add_f32_e32 v34, v34, v36
	v_sub_f32_e32 v36, v50, v54
	v_fmac_f32_e32 v5, -0.5, v35
	v_sub_f32_e32 v38, v40, v31
	v_fmamk_f32 v29, v37, 0x3f737871, v25
	v_fmac_f32_e32 v32, 0x3e9e377a, v34
	v_fmac_f32_e32 v4, 0x3e9e377a, v34
	v_add_f32_e32 v34, v33, v31
	v_fmac_f32_e32 v25, 0xbf737871, v37
	v_fmamk_f32 v33, v36, 0xbf737871, v5
	v_sub_f32_e32 v39, v53, v52
	v_sub_f32_e32 v31, v31, v40
	v_fmac_f32_e32 v5, 0x3f737871, v36
	v_sub_f32_e32 v35, v52, v53
	v_fmac_f32_e32 v29, 0x3f167918, v36
	v_fmac_f32_e32 v25, 0xbf167918, v36
	v_add_f32_e32 v36, v39, v31
	v_fmac_f32_e32 v5, 0xbf167918, v37
	v_add_f32_e32 v35, v35, v38
	;; [unrolled: 2-line block ×3, first 2 shown]
	v_fmac_f32_e32 v5, 0x3e9e377a, v36
	v_fmac_f32_e32 v29, 0x3e9e377a, v35
	;; [unrolled: 1-line block ×4, first 2 shown]
	ds_write_b64 v145, v[8:9] offset:2688
	ds_write_b64 v145, v[14:15] offset:5376
	ds_write_b64 v145, v[10:11] offset:8064
	ds_write_b64 v145, v[6:7] offset:10752
	ds_write2_b64 v145, v[12:13], v[20:21] offset1:112
	ds_write_b64 v145, v[22:23] offset:6272
	ds_write_b64 v145, v[26:27] offset:8960
	;; [unrolled: 1-line block ×4, first 2 shown]
	ds_write2_b64 v1, v[18:19], v[28:29] offset0:64 offset1:176
	ds_write_b64 v145, v[32:33] offset:7168
	ds_write_b64 v145, v[4:5] offset:9856
	;; [unrolled: 1-line block ×3, first 2 shown]
	s_waitcnt lgkmcnt(0)
	s_barrier
	buffer_gl0_inv
	ds_read2_b64 v[4:7], v145 offset1:112
	v_mad_u64_u32 v[14:15], null, s10, v112, 0
	s_waitcnt lgkmcnt(0)
	v_mul_f32_e32 v12, v128, v5
	v_mul_f32_e32 v8, v128, v4
	v_fmac_f32_e32 v12, v127, v4
	v_fma_f32 v5, v127, v5, -v8
	ds_read2_b64 v[8:11], v3 offset0:32 offset1:200
	v_cvt_f64_f32_e32 v[3:4], v12
	v_cvt_f64_f32_e32 v[12:13], v5
	s_waitcnt lgkmcnt(0)
	v_mul_f32_e32 v5, v134, v11
	v_mul_f32_e32 v18, v134, v10
	v_fmac_f32_e32 v5, v133, v10
	v_mul_f64 v[16:17], v[12:13], s[2:3]
	v_fma_f32 v10, v133, v11, -v18
	v_mul_f64 v[3:4], v[3:4], s[2:3]
	v_mad_u64_u32 v[18:19], null, s8, v146, 0
	v_cvt_f64_f32_e32 v[20:21], v5
	v_cvt_f64_f32_e32 v[22:23], v10
	v_add_nc_u32_e32 v10, 0x1c00, v145
	v_mov_b32_e32 v5, v15
	v_mov_b32_e32 v15, v19
	ds_read2_b64 v[10:13], v10 offset0:56 offset1:168
	v_mad_u64_u32 v[24:25], null, s11, v112, v[5:6]
	v_mul_f32_e32 v5, v124, v7
	v_fmac_f32_e32 v5, v123, v6
	v_mul_f32_e32 v6, v124, v6
	v_mad_u64_u32 v[25:26], null, s9, v146, v[15:16]
	v_mov_b32_e32 v15, v24
	v_cvt_f32_f64_e32 v26, v[3:4]
	v_cvt_f32_f64_e32 v27, v[16:17]
	v_mul_f64 v[16:17], v[22:23], s[2:3]
	v_lshlrev_b64 v[3:4], 3, v[14:15]
	v_mul_f64 v[14:15], v[20:21], s[2:3]
	v_mov_b32_e32 v19, v25
	s_waitcnt lgkmcnt(0)
	v_mul_f32_e32 v22, v132, v11
	v_add_co_u32 v24, s0, s6, v3
	v_fmac_f32_e32 v22, v131, v10
	v_mul_f32_e32 v10, v132, v10
	v_fma_f32 v3, v123, v7, -v6
	v_lshlrev_b64 v[18:19], 3, v[18:19]
	v_add_co_ci_u32_e64 v25, s0, s7, v4, s0
	v_fma_f32 v28, v131, v11, -v10
	v_cvt_f64_f32_e32 v[6:7], v5
	v_cvt_f64_f32_e32 v[20:21], v3
	ds_read2_b64 v[2:5], v2 offset0:96 offset1:208
	v_add_co_u32 v10, s0, v24, v18
	v_add_co_ci_u32_e64 v11, s0, v25, v19, s0
	v_cvt_f64_f32_e32 v[18:19], v28
	v_cvt_f32_f64_e32 v14, v[14:15]
	v_cvt_f32_f64_e32 v15, v[16:17]
	v_mul_f32_e32 v28, v130, v13
	v_cvt_f64_f32_e32 v[22:23], v22
	s_mul_i32 s0, s9, 0x348
	s_add_i32 s1, s1, s0
	s_mul_i32 s0, s8, 0x348
	v_fmac_f32_e32 v28, v129, v12
	v_mul_f32_e32 v12, v130, v12
	s_lshl_b64 s[4:5], s[0:1], 3
	s_mul_i32 s1, s9, 0xfffffd28
	v_add_co_u32 v16, s0, v10, s4
	s_waitcnt lgkmcnt(0)
	v_mul_f32_e32 v24, v120, v3
	v_mul_f32_e32 v25, v120, v2
	v_mul_f64 v[6:7], v[6:7], s[2:3]
	v_mul_f64 v[20:21], v[20:21], s[2:3]
	v_fma_f32 v12, v129, v13, -v12
	v_add_co_ci_u32_e64 v17, s0, s5, v11, s0
	v_fmac_f32_e32 v24, v119, v2
	v_fma_f32 v25, v119, v3, -v25
	v_mul_f64 v[2:3], v[18:19], s[2:3]
	v_add_nc_u32_e32 v13, 0x2400, v145
	global_store_dwordx2 v[10:11], v[26:27], off
	global_store_dwordx2 v[16:17], v[14:15], off
	v_cvt_f64_f32_e32 v[14:15], v12
	v_mul_f64 v[22:23], v[22:23], s[2:3]
	v_cvt_f64_f32_e32 v[18:19], v24
	ds_read2_b64 v[10:13], v13 offset0:24 offset1:136
	v_cvt_f64_f32_e32 v[24:25], v25
	v_cvt_f64_f32_e32 v[28:29], v28
	v_mul_f32_e32 v30, v126, v5
	s_mul_hi_u32 s0, s8, 0xfffffd28
	s_sub_i32 s0, s0, s8
	v_fmac_f32_e32 v30, v125, v4
	v_cvt_f32_f64_e32 v6, v[6:7]
	v_cvt_f32_f64_e32 v7, v[20:21]
	s_add_i32 s1, s0, s1
	s_mul_i32 s0, s8, 0xfffffd28
	s_lshl_b64 s[6:7], s[0:1], 3
	v_cvt_f32_f64_e32 v21, v[2:3]
	v_mul_f32_e32 v2, v126, v4
	v_add_co_u32 v16, s0, v16, s6
	v_mul_f64 v[26:27], v[14:15], s[2:3]
	s_waitcnt lgkmcnt(0)
	v_mul_f32_e32 v14, v122, v10
	v_fma_f32 v5, v125, v5, -v2
	ds_read2_b64 v[1:4], v1 offset0:64 offset1:176
	v_mul_f32_e32 v31, v122, v11
	v_add_co_ci_u32_e64 v17, s0, s7, v17, s0
	v_fma_f32 v14, v121, v11, -v14
	v_cvt_f32_f64_e32 v20, v[22:23]
	v_mul_f64 v[22:23], v[24:25], s[2:3]
	v_mul_f64 v[24:25], v[28:29], s[2:3]
	v_cvt_f64_f32_e32 v[28:29], v30
	v_fmac_f32_e32 v31, v121, v10
	v_cvt_f64_f32_e32 v[32:33], v14
	v_add_co_u32 v10, s0, v16, s4
	global_store_dwordx2 v[16:17], v[6:7], off
	v_cvt_f64_f32_e32 v[5:6], v5
	v_cvt_f64_f32_e32 v[30:31], v31
	v_add_co_ci_u32_e64 v11, s0, s5, v17, s0
	ds_read2_b64 v[14:17], v0 offset0:120 offset1:232
	v_mul_f64 v[18:19], v[18:19], s[2:3]
	s_waitcnt lgkmcnt(1)
	v_mul_f32_e32 v7, v111, v2
	v_mul_f32_e32 v0, v111, v1
	v_fmac_f32_e32 v7, v110, v1
	v_fma_f32 v2, v110, v2, -v0
	global_store_dwordx2 v[10:11], v[20:21], off
	v_cvt_f32_f64_e32 v21, v[26:27]
	v_cvt_f32_f64_e32 v20, v[24:25]
	v_mul_f64 v[24:25], v[28:29], s[2:3]
	v_cvt_f64_f32_e32 v[28:29], v7
	v_mul_f64 v[26:27], v[32:33], s[2:3]
	v_mul_f32_e32 v7, v114, v12
	v_mul_f32_e32 v33, v109, v3
	;; [unrolled: 1-line block ×3, first 2 shown]
	v_mul_f64 v[0:1], v[5:6], s[2:3]
	v_mul_f64 v[5:6], v[30:31], s[2:3]
	v_cvt_f64_f32_e32 v[30:31], v2
	v_mul_f32_e32 v2, v114, v13
	s_waitcnt lgkmcnt(0)
	v_mul_f32_e32 v36, v107, v15
	v_fma_f32 v7, v113, v13, -v7
	v_fma_f32 v4, v108, v4, -v33
	v_cvt_f32_f64_e32 v18, v[18:19]
	v_fmac_f32_e32 v2, v113, v12
	v_fmac_f32_e32 v36, v106, v14
	v_cvt_f64_f32_e32 v[12:13], v7
	v_cvt_f64_f32_e32 v[34:35], v4
	v_mul_f32_e32 v4, v107, v14
	v_mul_f32_e32 v14, v116, v9
	;; [unrolled: 1-line block ×3, first 2 shown]
	v_cvt_f32_f64_e32 v19, v[22:23]
	v_mul_f32_e32 v38, v118, v17
	v_mul_f32_e32 v39, v118, v16
	v_fmac_f32_e32 v32, v108, v3
	v_cvt_f64_f32_e32 v[2:3], v2
	v_fma_f32 v4, v106, v15, -v4
	v_fmac_f32_e32 v14, v115, v8
	v_fma_f32 v9, v115, v9, -v7
	v_fmac_f32_e32 v38, v117, v16
	v_fma_f32 v40, v117, v17, -v39
	v_cvt_f64_f32_e32 v[32:33], v32
	v_cvt_f64_f32_e32 v[7:8], v4
	;; [unrolled: 1-line block ×5, first 2 shown]
	v_add_co_u32 v10, s0, v10, s6
	v_cvt_f64_f32_e32 v[38:39], v38
	v_cvt_f64_f32_e32 v[40:41], v40
	v_add_co_ci_u32_e64 v11, s0, s7, v11, s0
	v_add_co_u32 v22, s0, v10, s4
	v_cvt_f32_f64_e32 v9, v[24:25]
	v_add_co_ci_u32_e64 v23, s0, s5, v11, s0
	global_store_dwordx2 v[10:11], v[18:19], off
	global_store_dwordx2 v[22:23], v[20:21], off
	v_cvt_f32_f64_e32 v10, v[0:1]
	v_mul_f64 v[0:1], v[28:29], s[2:3]
	v_mul_f64 v[18:19], v[30:31], s[2:3]
	;; [unrolled: 1-line block ×4, first 2 shown]
	v_add_co_u32 v20, s0, v22, s6
	v_add_co_ci_u32_e64 v21, s0, s7, v23, s0
	v_cvt_f32_f64_e32 v4, v[5:6]
	v_mul_f64 v[22:23], v[32:33], s[2:3]
	v_mul_f64 v[24:25], v[34:35], s[2:3]
	;; [unrolled: 1-line block ×5, first 2 shown]
	v_cvt_f32_f64_e32 v5, v[26:27]
	v_mul_f64 v[26:27], v[36:37], s[2:3]
	v_mul_f64 v[28:29], v[38:39], s[2:3]
	;; [unrolled: 1-line block ×3, first 2 shown]
	v_add_co_u32 v32, s0, v20, s4
	v_add_co_ci_u32_e64 v33, s0, s5, v21, s0
	v_cvt_f32_f64_e32 v0, v[0:1]
	v_add_co_u32 v17, s0, v32, s6
	v_cvt_f32_f64_e32 v1, v[18:19]
	v_add_co_ci_u32_e64 v18, s0, s7, v33, s0
	v_cvt_f32_f64_e32 v2, v[2:3]
	v_cvt_f32_f64_e32 v3, v[11:12]
	v_add_co_u32 v11, s0, v17, s4
	v_add_co_ci_u32_e64 v12, s0, s5, v18, s0
	v_cvt_f32_f64_e32 v22, v[22:23]
	v_cvt_f32_f64_e32 v23, v[24:25]
	;; [unrolled: 1-line block ×4, first 2 shown]
	v_add_co_u32 v15, s0, v11, s6
	v_cvt_f32_f64_e32 v24, v[26:27]
	v_add_co_ci_u32_e64 v16, s0, s7, v12, s0
	v_cvt_f32_f64_e32 v6, v[13:14]
	v_cvt_f32_f64_e32 v13, v[28:29]
	;; [unrolled: 1-line block ×3, first 2 shown]
	v_add_co_u32 v8, s0, v15, s4
	global_store_dwordx2 v[20:21], v[9:10], off
	v_add_co_ci_u32_e64 v9, s0, s5, v16, s0
	global_store_dwordx2 v[32:33], v[4:5], off
	v_add_co_u32 v4, s0, v8, s6
	v_add_co_ci_u32_e64 v5, s0, s7, v9, s0
	global_store_dwordx2 v[17:18], v[0:1], off
	v_add_co_u32 v0, s0, v4, s4
	v_add_co_ci_u32_e64 v1, s0, s5, v5, s0
	global_store_dwordx2 v[11:12], v[2:3], off
	global_store_dwordx2 v[15:16], v[22:23], off
	;; [unrolled: 1-line block ×5, first 2 shown]
	s_and_b32 exec_lo, exec_lo, vcc_lo
	s_cbranch_execz .LBB0_47
; %bb.46:
	global_load_dwordx2 v[2:3], v[104:105], off offset:128
	ds_read_b64 v[4:5], v145 offset:6272
	ds_read_b64 v[6:7], v145 offset:12992
	v_add_co_u32 v0, vcc_lo, v0, s6
	v_add_co_ci_u32_e32 v1, vcc_lo, s7, v1, vcc_lo
	s_waitcnt vmcnt(0) lgkmcnt(1)
	v_mul_f32_e32 v8, v5, v3
	v_mul_f32_e32 v3, v4, v3
	v_fmac_f32_e32 v8, v4, v2
	v_fma_f32 v4, v2, v5, -v3
	v_cvt_f64_f32_e32 v[2:3], v8
	v_cvt_f64_f32_e32 v[4:5], v4
	v_mul_f64 v[2:3], v[2:3], s[2:3]
	v_mul_f64 v[4:5], v[4:5], s[2:3]
	v_cvt_f32_f64_e32 v2, v[2:3]
	v_cvt_f32_f64_e32 v3, v[4:5]
	global_store_dwordx2 v[0:1], v[2:3], off
	global_load_dwordx2 v[2:3], v[137:138], off offset:704
	v_add_co_u32 v0, vcc_lo, v0, s4
	v_add_co_ci_u32_e32 v1, vcc_lo, s5, v1, vcc_lo
	s_waitcnt vmcnt(0) lgkmcnt(0)
	v_mul_f32_e32 v4, v7, v3
	v_mul_f32_e32 v3, v6, v3
	v_fmac_f32_e32 v4, v6, v2
	v_fma_f32 v5, v2, v7, -v3
	v_cvt_f64_f32_e32 v[2:3], v4
	v_cvt_f64_f32_e32 v[4:5], v5
	v_mul_f64 v[2:3], v[2:3], s[2:3]
	v_mul_f64 v[4:5], v[4:5], s[2:3]
	v_cvt_f32_f64_e32 v2, v[2:3]
	v_cvt_f32_f64_e32 v3, v[4:5]
	global_store_dwordx2 v[0:1], v[2:3], off
.LBB0_47:
	s_endpgm
	.section	.rodata,"a",@progbits
	.p2align	6, 0x0
	.amdhsa_kernel bluestein_single_fwd_len1680_dim1_sp_op_CI_CI
		.amdhsa_group_segment_fixed_size 13440
		.amdhsa_private_segment_fixed_size 0
		.amdhsa_kernarg_size 104
		.amdhsa_user_sgpr_count 6
		.amdhsa_user_sgpr_private_segment_buffer 1
		.amdhsa_user_sgpr_dispatch_ptr 0
		.amdhsa_user_sgpr_queue_ptr 0
		.amdhsa_user_sgpr_kernarg_segment_ptr 1
		.amdhsa_user_sgpr_dispatch_id 0
		.amdhsa_user_sgpr_flat_scratch_init 0
		.amdhsa_user_sgpr_private_segment_size 0
		.amdhsa_wavefront_size32 1
		.amdhsa_uses_dynamic_stack 0
		.amdhsa_system_sgpr_private_segment_wavefront_offset 0
		.amdhsa_system_sgpr_workgroup_id_x 1
		.amdhsa_system_sgpr_workgroup_id_y 0
		.amdhsa_system_sgpr_workgroup_id_z 0
		.amdhsa_system_sgpr_workgroup_info 0
		.amdhsa_system_vgpr_workitem_id 0
		.amdhsa_next_free_vgpr 248
		.amdhsa_next_free_sgpr 16
		.amdhsa_reserve_vcc 1
		.amdhsa_reserve_flat_scratch 0
		.amdhsa_float_round_mode_32 0
		.amdhsa_float_round_mode_16_64 0
		.amdhsa_float_denorm_mode_32 3
		.amdhsa_float_denorm_mode_16_64 3
		.amdhsa_dx10_clamp 1
		.amdhsa_ieee_mode 1
		.amdhsa_fp16_overflow 0
		.amdhsa_workgroup_processor_mode 1
		.amdhsa_memory_ordered 1
		.amdhsa_forward_progress 0
		.amdhsa_shared_vgpr_count 0
		.amdhsa_exception_fp_ieee_invalid_op 0
		.amdhsa_exception_fp_denorm_src 0
		.amdhsa_exception_fp_ieee_div_zero 0
		.amdhsa_exception_fp_ieee_overflow 0
		.amdhsa_exception_fp_ieee_underflow 0
		.amdhsa_exception_fp_ieee_inexact 0
		.amdhsa_exception_int_div_zero 0
	.end_amdhsa_kernel
	.text
.Lfunc_end0:
	.size	bluestein_single_fwd_len1680_dim1_sp_op_CI_CI, .Lfunc_end0-bluestein_single_fwd_len1680_dim1_sp_op_CI_CI
                                        ; -- End function
	.section	.AMDGPU.csdata,"",@progbits
; Kernel info:
; codeLenInByte = 18296
; NumSgprs: 18
; NumVgprs: 248
; ScratchSize: 0
; MemoryBound: 0
; FloatMode: 240
; IeeeMode: 1
; LDSByteSize: 13440 bytes/workgroup (compile time only)
; SGPRBlocks: 2
; VGPRBlocks: 30
; NumSGPRsForWavesPerEU: 18
; NumVGPRsForWavesPerEU: 248
; Occupancy: 4
; WaveLimiterHint : 1
; COMPUTE_PGM_RSRC2:SCRATCH_EN: 0
; COMPUTE_PGM_RSRC2:USER_SGPR: 6
; COMPUTE_PGM_RSRC2:TRAP_HANDLER: 0
; COMPUTE_PGM_RSRC2:TGID_X_EN: 1
; COMPUTE_PGM_RSRC2:TGID_Y_EN: 0
; COMPUTE_PGM_RSRC2:TGID_Z_EN: 0
; COMPUTE_PGM_RSRC2:TIDIG_COMP_CNT: 0
	.text
	.p2alignl 6, 3214868480
	.fill 48, 4, 3214868480
	.type	__hip_cuid_13ed8a377de590ac,@object ; @__hip_cuid_13ed8a377de590ac
	.section	.bss,"aw",@nobits
	.globl	__hip_cuid_13ed8a377de590ac
__hip_cuid_13ed8a377de590ac:
	.byte	0                               ; 0x0
	.size	__hip_cuid_13ed8a377de590ac, 1

	.ident	"AMD clang version 19.0.0git (https://github.com/RadeonOpenCompute/llvm-project roc-6.4.0 25133 c7fe45cf4b819c5991fe208aaa96edf142730f1d)"
	.section	".note.GNU-stack","",@progbits
	.addrsig
	.addrsig_sym __hip_cuid_13ed8a377de590ac
	.amdgpu_metadata
---
amdhsa.kernels:
  - .args:
      - .actual_access:  read_only
        .address_space:  global
        .offset:         0
        .size:           8
        .value_kind:     global_buffer
      - .actual_access:  read_only
        .address_space:  global
        .offset:         8
        .size:           8
        .value_kind:     global_buffer
      - .actual_access:  read_only
        .address_space:  global
        .offset:         16
        .size:           8
        .value_kind:     global_buffer
      - .actual_access:  read_only
        .address_space:  global
        .offset:         24
        .size:           8
        .value_kind:     global_buffer
      - .actual_access:  read_only
        .address_space:  global
        .offset:         32
        .size:           8
        .value_kind:     global_buffer
      - .offset:         40
        .size:           8
        .value_kind:     by_value
      - .address_space:  global
        .offset:         48
        .size:           8
        .value_kind:     global_buffer
      - .address_space:  global
        .offset:         56
        .size:           8
        .value_kind:     global_buffer
      - .address_space:  global
        .offset:         64
        .size:           8
        .value_kind:     global_buffer
      - .address_space:  global
        .offset:         72
        .size:           8
        .value_kind:     global_buffer
      - .offset:         80
        .size:           4
        .value_kind:     by_value
      - .address_space:  global
        .offset:         88
        .size:           8
        .value_kind:     global_buffer
      - .address_space:  global
        .offset:         96
        .size:           8
        .value_kind:     global_buffer
    .group_segment_fixed_size: 13440
    .kernarg_segment_align: 8
    .kernarg_segment_size: 104
    .language:       OpenCL C
    .language_version:
      - 2
      - 0
    .max_flat_workgroup_size: 112
    .name:           bluestein_single_fwd_len1680_dim1_sp_op_CI_CI
    .private_segment_fixed_size: 0
    .sgpr_count:     18
    .sgpr_spill_count: 0
    .symbol:         bluestein_single_fwd_len1680_dim1_sp_op_CI_CI.kd
    .uniform_work_group_size: 1
    .uses_dynamic_stack: false
    .vgpr_count:     248
    .vgpr_spill_count: 0
    .wavefront_size: 32
    .workgroup_processor_mode: 1
amdhsa.target:   amdgcn-amd-amdhsa--gfx1030
amdhsa.version:
  - 1
  - 2
...

	.end_amdgpu_metadata
